;; amdgpu-corpus repo=ROCm/rocFFT kind=compiled arch=gfx1030 opt=O3
	.text
	.amdgcn_target "amdgcn-amd-amdhsa--gfx1030"
	.amdhsa_code_object_version 6
	.protected	fft_rtc_back_len1782_factors_11_3_3_3_3_2_wgs_99_tpt_99_halfLds_dp_ip_CI_unitstride_sbrr_R2C_dirReg ; -- Begin function fft_rtc_back_len1782_factors_11_3_3_3_3_2_wgs_99_tpt_99_halfLds_dp_ip_CI_unitstride_sbrr_R2C_dirReg
	.globl	fft_rtc_back_len1782_factors_11_3_3_3_3_2_wgs_99_tpt_99_halfLds_dp_ip_CI_unitstride_sbrr_R2C_dirReg
	.p2align	8
	.type	fft_rtc_back_len1782_factors_11_3_3_3_3_2_wgs_99_tpt_99_halfLds_dp_ip_CI_unitstride_sbrr_R2C_dirReg,@function
fft_rtc_back_len1782_factors_11_3_3_3_3_2_wgs_99_tpt_99_halfLds_dp_ip_CI_unitstride_sbrr_R2C_dirReg: ; @fft_rtc_back_len1782_factors_11_3_3_3_3_2_wgs_99_tpt_99_halfLds_dp_ip_CI_unitstride_sbrr_R2C_dirReg
; %bb.0:
	s_clause 0x2
	s_load_dwordx4 s[8:11], s[4:5], 0x0
	s_load_dwordx2 s[2:3], s[4:5], 0x50
	s_load_dwordx2 s[12:13], s[4:5], 0x18
	v_mul_u32_u24_e32 v1, 0x296, v0
	v_mov_b32_e32 v3, 0
	v_add_nc_u32_sdwa v5, s6, v1 dst_sel:DWORD dst_unused:UNUSED_PAD src0_sel:DWORD src1_sel:WORD_1
	v_mov_b32_e32 v1, 0
	v_mov_b32_e32 v6, v3
	v_mov_b32_e32 v2, 0
	s_waitcnt lgkmcnt(0)
	v_cmp_lt_u64_e64 s0, s[10:11], 2
	s_and_b32 vcc_lo, exec_lo, s0
	s_cbranch_vccnz .LBB0_8
; %bb.1:
	s_load_dwordx2 s[0:1], s[4:5], 0x10
	v_mov_b32_e32 v1, 0
	s_add_u32 s6, s12, 8
	v_mov_b32_e32 v2, 0
	s_addc_u32 s7, s13, 0
	s_mov_b64 s[16:17], 1
	s_waitcnt lgkmcnt(0)
	s_add_u32 s14, s0, 8
	s_addc_u32 s15, s1, 0
.LBB0_2:                                ; =>This Inner Loop Header: Depth=1
	s_load_dwordx2 s[18:19], s[14:15], 0x0
                                        ; implicit-def: $vgpr7_vgpr8
	s_mov_b32 s0, exec_lo
	s_waitcnt lgkmcnt(0)
	v_or_b32_e32 v4, s19, v6
	v_cmpx_ne_u64_e32 0, v[3:4]
	s_xor_b32 s1, exec_lo, s0
	s_cbranch_execz .LBB0_4
; %bb.3:                                ;   in Loop: Header=BB0_2 Depth=1
	v_cvt_f32_u32_e32 v4, s18
	v_cvt_f32_u32_e32 v7, s19
	s_sub_u32 s0, 0, s18
	s_subb_u32 s20, 0, s19
	v_fmac_f32_e32 v4, 0x4f800000, v7
	v_rcp_f32_e32 v4, v4
	v_mul_f32_e32 v4, 0x5f7ffffc, v4
	v_mul_f32_e32 v7, 0x2f800000, v4
	v_trunc_f32_e32 v7, v7
	v_fmac_f32_e32 v4, 0xcf800000, v7
	v_cvt_u32_f32_e32 v7, v7
	v_cvt_u32_f32_e32 v4, v4
	v_mul_lo_u32 v8, s0, v7
	v_mul_hi_u32 v9, s0, v4
	v_mul_lo_u32 v10, s20, v4
	v_add_nc_u32_e32 v8, v9, v8
	v_mul_lo_u32 v9, s0, v4
	v_add_nc_u32_e32 v8, v8, v10
	v_mul_hi_u32 v10, v4, v9
	v_mul_lo_u32 v11, v4, v8
	v_mul_hi_u32 v12, v4, v8
	v_mul_hi_u32 v13, v7, v9
	v_mul_lo_u32 v9, v7, v9
	v_mul_hi_u32 v14, v7, v8
	v_mul_lo_u32 v8, v7, v8
	v_add_co_u32 v10, vcc_lo, v10, v11
	v_add_co_ci_u32_e32 v11, vcc_lo, 0, v12, vcc_lo
	v_add_co_u32 v9, vcc_lo, v10, v9
	v_add_co_ci_u32_e32 v9, vcc_lo, v11, v13, vcc_lo
	v_add_co_ci_u32_e32 v10, vcc_lo, 0, v14, vcc_lo
	v_add_co_u32 v8, vcc_lo, v9, v8
	v_add_co_ci_u32_e32 v9, vcc_lo, 0, v10, vcc_lo
	v_add_co_u32 v4, vcc_lo, v4, v8
	v_add_co_ci_u32_e32 v7, vcc_lo, v7, v9, vcc_lo
	v_mul_hi_u32 v8, s0, v4
	v_mul_lo_u32 v10, s20, v4
	v_mul_lo_u32 v9, s0, v7
	v_add_nc_u32_e32 v8, v8, v9
	v_mul_lo_u32 v9, s0, v4
	v_add_nc_u32_e32 v8, v8, v10
	v_mul_hi_u32 v10, v4, v9
	v_mul_lo_u32 v11, v4, v8
	v_mul_hi_u32 v12, v4, v8
	v_mul_hi_u32 v13, v7, v9
	v_mul_lo_u32 v9, v7, v9
	v_mul_hi_u32 v14, v7, v8
	v_mul_lo_u32 v8, v7, v8
	v_add_co_u32 v10, vcc_lo, v10, v11
	v_add_co_ci_u32_e32 v11, vcc_lo, 0, v12, vcc_lo
	v_add_co_u32 v9, vcc_lo, v10, v9
	v_add_co_ci_u32_e32 v9, vcc_lo, v11, v13, vcc_lo
	v_add_co_ci_u32_e32 v10, vcc_lo, 0, v14, vcc_lo
	v_add_co_u32 v8, vcc_lo, v9, v8
	v_add_co_ci_u32_e32 v9, vcc_lo, 0, v10, vcc_lo
	v_add_co_u32 v4, vcc_lo, v4, v8
	v_add_co_ci_u32_e32 v11, vcc_lo, v7, v9, vcc_lo
	v_mul_hi_u32 v13, v5, v4
	v_mad_u64_u32 v[9:10], null, v6, v4, 0
	v_mad_u64_u32 v[7:8], null, v5, v11, 0
	;; [unrolled: 1-line block ×3, first 2 shown]
	v_add_co_u32 v4, vcc_lo, v13, v7
	v_add_co_ci_u32_e32 v7, vcc_lo, 0, v8, vcc_lo
	v_add_co_u32 v4, vcc_lo, v4, v9
	v_add_co_ci_u32_e32 v4, vcc_lo, v7, v10, vcc_lo
	v_add_co_ci_u32_e32 v7, vcc_lo, 0, v12, vcc_lo
	v_add_co_u32 v4, vcc_lo, v4, v11
	v_add_co_ci_u32_e32 v9, vcc_lo, 0, v7, vcc_lo
	v_mul_lo_u32 v10, s19, v4
	v_mad_u64_u32 v[7:8], null, s18, v4, 0
	v_mul_lo_u32 v11, s18, v9
	v_sub_co_u32 v7, vcc_lo, v5, v7
	v_add3_u32 v8, v8, v11, v10
	v_sub_nc_u32_e32 v10, v6, v8
	v_subrev_co_ci_u32_e64 v10, s0, s19, v10, vcc_lo
	v_add_co_u32 v11, s0, v4, 2
	v_add_co_ci_u32_e64 v12, s0, 0, v9, s0
	v_sub_co_u32 v13, s0, v7, s18
	v_sub_co_ci_u32_e32 v8, vcc_lo, v6, v8, vcc_lo
	v_subrev_co_ci_u32_e64 v10, s0, 0, v10, s0
	v_cmp_le_u32_e32 vcc_lo, s18, v13
	v_cmp_eq_u32_e64 s0, s19, v8
	v_cndmask_b32_e64 v13, 0, -1, vcc_lo
	v_cmp_le_u32_e32 vcc_lo, s19, v10
	v_cndmask_b32_e64 v14, 0, -1, vcc_lo
	v_cmp_le_u32_e32 vcc_lo, s18, v7
	;; [unrolled: 2-line block ×3, first 2 shown]
	v_cndmask_b32_e64 v15, 0, -1, vcc_lo
	v_cmp_eq_u32_e32 vcc_lo, s19, v10
	v_cndmask_b32_e64 v7, v15, v7, s0
	v_cndmask_b32_e32 v10, v14, v13, vcc_lo
	v_add_co_u32 v13, vcc_lo, v4, 1
	v_add_co_ci_u32_e32 v14, vcc_lo, 0, v9, vcc_lo
	v_cmp_ne_u32_e32 vcc_lo, 0, v10
	v_cndmask_b32_e32 v8, v14, v12, vcc_lo
	v_cndmask_b32_e32 v10, v13, v11, vcc_lo
	v_cmp_ne_u32_e32 vcc_lo, 0, v7
	v_cndmask_b32_e32 v8, v9, v8, vcc_lo
	v_cndmask_b32_e32 v7, v4, v10, vcc_lo
.LBB0_4:                                ;   in Loop: Header=BB0_2 Depth=1
	s_andn2_saveexec_b32 s0, s1
	s_cbranch_execz .LBB0_6
; %bb.5:                                ;   in Loop: Header=BB0_2 Depth=1
	v_cvt_f32_u32_e32 v4, s18
	s_sub_i32 s1, 0, s18
	v_rcp_iflag_f32_e32 v4, v4
	v_mul_f32_e32 v4, 0x4f7ffffe, v4
	v_cvt_u32_f32_e32 v4, v4
	v_mul_lo_u32 v7, s1, v4
	v_mul_hi_u32 v7, v4, v7
	v_add_nc_u32_e32 v4, v4, v7
	v_mul_hi_u32 v4, v5, v4
	v_mul_lo_u32 v7, v4, s18
	v_add_nc_u32_e32 v8, 1, v4
	v_sub_nc_u32_e32 v7, v5, v7
	v_subrev_nc_u32_e32 v9, s18, v7
	v_cmp_le_u32_e32 vcc_lo, s18, v7
	v_cndmask_b32_e32 v7, v7, v9, vcc_lo
	v_cndmask_b32_e32 v4, v4, v8, vcc_lo
	v_cmp_le_u32_e32 vcc_lo, s18, v7
	v_add_nc_u32_e32 v8, 1, v4
	v_cndmask_b32_e32 v7, v4, v8, vcc_lo
	v_mov_b32_e32 v8, v3
.LBB0_6:                                ;   in Loop: Header=BB0_2 Depth=1
	s_or_b32 exec_lo, exec_lo, s0
	s_load_dwordx2 s[0:1], s[6:7], 0x0
	v_mul_lo_u32 v4, v8, s18
	v_mul_lo_u32 v11, v7, s19
	v_mad_u64_u32 v[9:10], null, v7, s18, 0
	s_add_u32 s16, s16, 1
	s_addc_u32 s17, s17, 0
	s_add_u32 s6, s6, 8
	s_addc_u32 s7, s7, 0
	;; [unrolled: 2-line block ×3, first 2 shown]
	v_add3_u32 v4, v10, v11, v4
	v_sub_co_u32 v5, vcc_lo, v5, v9
	v_sub_co_ci_u32_e32 v4, vcc_lo, v6, v4, vcc_lo
	s_waitcnt lgkmcnt(0)
	v_mul_lo_u32 v6, s1, v5
	v_mul_lo_u32 v4, s0, v4
	v_mad_u64_u32 v[1:2], null, s0, v5, v[1:2]
	v_cmp_ge_u64_e64 s0, s[16:17], s[10:11]
	s_and_b32 vcc_lo, exec_lo, s0
	v_add3_u32 v2, v6, v2, v4
	s_cbranch_vccnz .LBB0_9
; %bb.7:                                ;   in Loop: Header=BB0_2 Depth=1
	v_mov_b32_e32 v5, v7
	v_mov_b32_e32 v6, v8
	s_branch .LBB0_2
.LBB0_8:
	v_mov_b32_e32 v8, v6
	v_mov_b32_e32 v7, v5
.LBB0_9:
	s_lshl_b64 s[0:1], s[10:11], 3
	v_mul_hi_u32 v3, 0x295fad5, v0
	s_add_u32 s0, s12, s0
	s_addc_u32 s1, s13, s1
	s_load_dwordx2 s[0:1], s[0:1], 0x0
	s_load_dwordx2 s[4:5], s[4:5], 0x20
	v_mul_u32_u24_e32 v3, 0x63, v3
	v_sub_nc_u32_e32 v76, v0, v3
	v_add_nc_u32_e32 v80, 0x63, v76
	s_waitcnt lgkmcnt(0)
	v_mul_lo_u32 v4, s0, v8
	v_mul_lo_u32 v5, s1, v7
	v_mad_u64_u32 v[1:2], null, s0, v7, v[1:2]
	v_cmp_gt_u64_e32 vcc_lo, s[4:5], v[7:8]
	v_cmp_le_u64_e64 s0, s[4:5], v[7:8]
	v_add3_u32 v2, v5, v2, v4
	s_and_saveexec_b32 s1, s0
	s_xor_b32 s0, exec_lo, s1
; %bb.10:
	v_add_nc_u32_e32 v80, 0x63, v76
; %bb.11:
	s_or_saveexec_b32 s1, s0
	v_lshlrev_b64 v[78:79], 4, v[1:2]
	v_lshl_add_u32 v89, v76, 4, 0
	s_xor_b32 exec_lo, exec_lo, s1
	s_cbranch_execz .LBB0_13
; %bb.12:
	v_mov_b32_e32 v77, 0
	v_add_co_u32 v2, s0, s2, v78
	v_add_co_ci_u32_e64 v3, s0, s3, v79, s0
	v_lshlrev_b64 v[0:1], 4, v[76:77]
	v_add_co_u32 v16, s0, v2, v0
	v_add_co_ci_u32_e64 v17, s0, v3, v1, s0
	s_clause 0x1
	global_load_dwordx4 v[0:3], v[16:17], off
	global_load_dwordx4 v[4:7], v[16:17], off offset:1584
	v_add_co_u32 v8, s0, 0x800, v16
	v_add_co_ci_u32_e64 v9, s0, 0, v17, s0
	v_add_co_u32 v12, s0, 0x1000, v16
	v_add_co_ci_u32_e64 v13, s0, 0, v17, s0
	;; [unrolled: 2-line block ×13, first 2 shown]
	s_clause 0xf
	global_load_dwordx4 v[8:11], v[8:9], off offset:1120
	global_load_dwordx4 v[12:15], v[12:13], off offset:656
	;; [unrolled: 1-line block ×16, first 2 shown]
	s_waitcnt vmcnt(17)
	ds_write_b128 v89, v[0:3]
	s_waitcnt vmcnt(16)
	ds_write_b128 v89, v[4:7] offset:1584
	s_waitcnt vmcnt(15)
	ds_write_b128 v89, v[8:11] offset:3168
	;; [unrolled: 2-line block ×17, first 2 shown]
.LBB0_13:
	s_or_b32 exec_lo, exec_lo, s1
	s_waitcnt lgkmcnt(0)
	s_barrier
	buffer_gl0_inv
	ds_read_b128 v[48:51], v89 offset:2592
	ds_read_b128 v[44:47], v89
	ds_read_b128 v[0:3], v89 offset:1584
	ds_read_b128 v[8:11], v89 offset:4176
	;; [unrolled: 1-line block ×4, first 2 shown]
	s_mov_b32 s20, 0xf8bb580b
	s_mov_b32 s18, 0x8eee2c13
	;; [unrolled: 1-line block ×16, first 2 shown]
	s_waitcnt lgkmcnt(4)
	v_add_f64 v[12:13], v[44:45], v[48:49]
	v_add_f64 v[14:15], v[46:47], v[50:51]
	s_mov_b32 s15, 0x3fda9628
	s_mov_b32 s7, 0xbfc2375f
	;; [unrolled: 1-line block ×14, first 2 shown]
	v_mad_u32_u24 v77, 0xa0, v76, v89
	s_waitcnt lgkmcnt(1)
	v_add_f64 v[16:17], v[12:13], v[52:53]
	v_add_f64 v[18:19], v[14:15], v[54:55]
	ds_read_b128 v[64:67], v89 offset:7776
	ds_read_b128 v[12:15], v89 offset:9360
	;; [unrolled: 1-line block ×8, first 2 shown]
	s_waitcnt lgkmcnt(3)
	v_add_f64 v[104:105], v[54:55], -v[62:63]
	v_add_f64 v[16:17], v[16:17], v[64:65]
	v_add_f64 v[18:19], v[18:19], v[66:67]
	s_waitcnt lgkmcnt(2)
	v_add_f64 v[98:99], v[50:51], -v[58:59]
	v_add_f64 v[50:51], v[50:51], v[58:59]
	s_waitcnt lgkmcnt(0)
	v_add_f64 v[100:101], v[81:82], v[68:69]
	v_add_f64 v[102:103], v[83:84], v[70:71]
	;; [unrolled: 1-line block ×4, first 2 shown]
	v_add_f64 v[48:49], v[48:49], -v[56:57]
	v_add_f64 v[120:121], v[52:53], v[60:61]
	v_add_f64 v[52:53], v[52:53], -v[60:61]
	v_mul_f64 v[126:127], v[104:105], s[18:19]
	v_add_f64 v[94:95], v[16:17], v[72:73]
	v_add_f64 v[96:97], v[18:19], v[74:75]
	v_mul_f64 v[116:117], v[98:99], s[20:21]
	v_mul_f64 v[118:119], v[50:51], s[4:5]
	;; [unrolled: 1-line block ×7, first 2 shown]
	ds_read_b128 v[20:23], v89 offset:14544
	ds_read_b128 v[16:19], v89 offset:17136
	;; [unrolled: 1-line block ×8, first 2 shown]
	v_mul_f64 v[132:133], v[54:55], s[14:15]
	v_mul_f64 v[134:135], v[104:105], s[12:13]
	;; [unrolled: 1-line block ×5, first 2 shown]
	s_waitcnt lgkmcnt(0)
	s_barrier
	buffer_gl0_inv
	v_fma_f64 v[150:151], v[120:121], s[14:15], v[126:127]
	v_add_f64 v[94:95], v[94:95], v[81:82]
	v_add_f64 v[96:97], v[96:97], v[83:84]
	v_add_f64 v[81:82], v[81:82], -v[68:69]
	v_add_f64 v[83:84], v[83:84], -v[70:71]
	v_add_f64 v[106:107], v[72:73], v[85:86]
	v_add_f64 v[108:109], v[74:75], v[87:88]
	v_add_f64 v[72:73], v[72:73], -v[85:86]
	v_add_f64 v[110:111], v[66:67], -v[92:93]
	v_add_f64 v[66:67], v[66:67], v[92:93]
	v_add_f64 v[74:75], v[74:75], -v[87:88]
	v_fma_f64 v[142:143], v[112:113], s[4:5], v[116:117]
	v_fma_f64 v[116:117], v[112:113], s[4:5], -v[116:117]
	v_fma_f64 v[144:145], v[48:49], s[26:27], v[118:119]
	v_fma_f64 v[146:147], v[112:113], s[24:25], v[122:123]
	;; [unrolled: 1-line block ×5, first 2 shown]
	v_fma_f64 v[122:123], v[112:113], s[24:25], -v[122:123]
	v_fma_f64 v[152:153], v[48:49], s[28:29], v[128:129]
	v_fma_f64 v[128:129], v[48:49], s[16:17], v[128:129]
	;; [unrolled: 1-line block ×3, first 2 shown]
	v_add_f64 v[114:115], v[64:65], v[90:91]
	v_add_f64 v[68:69], v[94:95], v[68:69]
	;; [unrolled: 1-line block ×3, first 2 shown]
	v_mul_f64 v[94:95], v[98:99], s[18:19]
	v_mul_f64 v[96:97], v[98:99], s[16:17]
	;; [unrolled: 1-line block ×3, first 2 shown]
	v_add_f64 v[64:65], v[64:65], -v[90:91]
	v_add_f64 v[142:143], v[44:45], v[142:143]
	v_add_f64 v[116:117], v[44:45], v[116:117]
	;; [unrolled: 1-line block ×13, first 2 shown]
	v_fma_f64 v[85:86], v[112:113], s[14:15], v[94:95]
	v_fma_f64 v[87:88], v[112:113], s[14:15], -v[94:95]
	v_fma_f64 v[94:95], v[112:113], s[6:7], v[96:97]
	v_fma_f64 v[96:97], v[112:113], s[6:7], -v[96:97]
	v_fma_f64 v[154:155], v[112:113], s[22:23], v[98:99]
	v_fma_f64 v[98:99], v[112:113], s[22:23], -v[98:99]
	v_fma_f64 v[112:113], v[48:49], s[0:1], v[130:131]
	v_fma_f64 v[130:131], v[48:49], s[12:13], v[130:131]
	;; [unrolled: 1-line block ×4, first 2 shown]
	v_add_f64 v[142:143], v[150:151], v[142:143]
	v_fma_f64 v[150:151], v[52:53], s[10:11], v[140:141]
	v_fma_f64 v[140:141], v[52:53], s[30:31], v[140:141]
	v_add_f64 v[68:69], v[68:69], v[90:91]
	v_add_f64 v[70:71], v[70:71], v[92:93]
	v_fma_f64 v[90:91], v[120:121], s[24:25], v[134:135]
	v_fma_f64 v[92:93], v[52:53], s[0:1], v[136:137]
	v_add_f64 v[85:86], v[44:45], v[85:86]
	v_add_f64 v[87:88], v[44:45], v[87:88]
	;; [unrolled: 1-line block ×9, first 2 shown]
	v_mul_f64 v[48:49], v[110:111], s[16:17]
	v_fma_f64 v[98:99], v[120:121], s[24:25], -v[134:135]
	v_mul_f64 v[134:135], v[66:67], s[6:7]
	v_add_f64 v[50:51], v[50:51], v[144:145]
	v_mul_f64 v[144:145], v[66:67], s[22:23]
	v_add_f64 v[150:151], v[150:151], v[152:153]
	v_add_f64 v[128:129], v[140:141], v[128:129]
	v_mul_f64 v[140:141], v[74:75], s[20:21]
	v_add_f64 v[60:61], v[68:69], v[60:61]
	v_add_f64 v[62:63], v[70:71], v[62:63]
	v_mul_f64 v[68:69], v[110:111], s[30:31]
	v_fma_f64 v[70:71], v[52:53], s[12:13], v[136:137]
	v_fma_f64 v[136:137], v[120:121], s[22:23], v[138:139]
	v_fma_f64 v[138:139], v[120:121], s[22:23], -v[138:139]
	v_add_f64 v[85:86], v[90:91], v[85:86]
	v_mul_f64 v[90:91], v[110:111], s[34:35]
	v_add_f64 v[92:93], v[92:93], v[148:149]
	v_fma_f64 v[148:149], v[114:115], s[6:7], v[48:49]
	v_add_f64 v[87:88], v[98:99], v[87:88]
	v_fma_f64 v[98:99], v[64:65], s[28:29], v[134:135]
	v_fma_f64 v[48:49], v[114:115], s[6:7], -v[48:49]
	v_fma_f64 v[152:153], v[64:65], s[10:11], v[144:145]
	v_fma_f64 v[144:145], v[64:65], s[30:31], v[144:145]
	v_add_f64 v[70:71], v[70:71], v[124:125]
	v_mul_f64 v[124:125], v[74:75], s[12:13]
	v_add_f64 v[94:95], v[136:137], v[94:95]
	v_fma_f64 v[136:137], v[114:115], s[22:23], v[68:69]
	v_add_f64 v[96:97], v[138:139], v[96:97]
	v_mul_f64 v[138:139], v[66:67], s[14:15]
	v_fma_f64 v[68:69], v[114:115], s[22:23], -v[68:69]
	v_add_f64 v[142:143], v[148:149], v[142:143]
	v_fma_f64 v[148:149], v[114:115], s[14:15], v[90:91]
	v_add_f64 v[50:51], v[98:99], v[50:51]
	v_mul_f64 v[98:99], v[108:109], s[24:25]
	v_add_f64 v[92:93], v[152:153], v[92:93]
	v_fma_f64 v[90:91], v[114:115], s[14:15], -v[90:91]
	v_add_f64 v[70:71], v[144:145], v[70:71]
	v_fma_f64 v[144:145], v[106:107], s[24:25], v[124:125]
	v_add_f64 v[85:86], v[136:137], v[85:86]
	v_mul_f64 v[136:137], v[74:75], s[28:29]
	v_fma_f64 v[152:153], v[64:65], s[18:19], v[138:139]
	v_add_f64 v[68:69], v[68:69], v[87:88]
	v_mul_f64 v[87:88], v[108:109], s[6:7]
	v_fma_f64 v[138:139], v[64:65], s[34:35], v[138:139]
	v_add_f64 v[94:95], v[148:149], v[94:95]
	v_fma_f64 v[148:149], v[72:73], s[0:1], v[98:99]
	v_add_f64 v[90:91], v[90:91], v[96:97]
	v_add_f64 v[142:143], v[144:145], v[142:143]
	;; [unrolled: 1-line block ×3, first 2 shown]
	v_fma_f64 v[152:153], v[106:107], s[6:7], v[136:137]
	v_fma_f64 v[144:145], v[72:73], s[16:17], v[87:88]
	v_fma_f64 v[136:137], v[106:107], s[6:7], -v[136:137]
	v_fma_f64 v[87:88], v[72:73], s[28:29], v[87:88]
	v_add_f64 v[128:129], v[138:139], v[128:129]
	v_add_f64 v[50:51], v[148:149], v[50:51]
	v_mul_f64 v[148:149], v[104:105], s[28:29]
	v_mul_f64 v[104:105], v[104:105], s[26:27]
	v_add_f64 v[85:86], v[152:153], v[85:86]
	v_mul_f64 v[152:153], v[54:55], s[6:7]
	v_add_f64 v[92:93], v[144:145], v[92:93]
	v_add_f64 v[68:69], v[136:137], v[68:69]
	;; [unrolled: 1-line block ×3, first 2 shown]
	v_mul_f64 v[54:55], v[54:55], s[4:5]
	v_fma_f64 v[144:145], v[120:121], s[6:7], v[148:149]
	v_fma_f64 v[148:149], v[120:121], s[6:7], -v[148:149]
	v_fma_f64 v[96:97], v[120:121], s[4:5], v[104:105]
	v_fma_f64 v[104:105], v[120:121], s[4:5], -v[104:105]
	v_fma_f64 v[120:121], v[120:121], s[14:15], -v[126:127]
	v_fma_f64 v[136:137], v[52:53], s[16:17], v[152:153]
	v_fma_f64 v[152:153], v[52:53], s[28:29], v[152:153]
	;; [unrolled: 1-line block ×5, first 2 shown]
	v_add_f64 v[144:145], v[144:145], v[146:147]
	v_mul_f64 v[146:147], v[108:109], s[4:5]
	v_add_f64 v[96:97], v[96:97], v[154:155]
	v_mul_f64 v[154:155], v[74:75], s[10:11]
	v_add_f64 v[44:45], v[104:105], v[44:45]
	v_add_f64 v[116:117], v[120:121], v[116:117]
	v_mul_f64 v[74:75], v[74:75], s[34:35]
	v_add_f64 v[122:123], v[148:149], v[122:123]
	v_mul_f64 v[148:149], v[83:84], s[26:27]
	v_add_f64 v[112:113], v[136:137], v[112:113]
	v_fma_f64 v[136:137], v[106:107], s[4:5], v[140:141]
	v_add_f64 v[130:131], v[152:153], v[130:131]
	v_mul_f64 v[152:153], v[102:103], s[4:5]
	v_add_f64 v[126:127], v[126:127], v[156:157]
	v_mul_f64 v[156:157], v[108:109], s[22:23]
	v_add_f64 v[46:47], v[54:55], v[46:47]
	v_add_f64 v[52:53], v[52:53], v[118:119]
	v_fma_f64 v[87:88], v[72:73], s[26:27], v[146:147]
	v_mul_f64 v[108:109], v[108:109], s[14:15]
	v_fma_f64 v[140:141], v[106:107], s[4:5], -v[140:141]
	v_fma_f64 v[146:147], v[72:73], s[20:21], v[146:147]
	v_add_f64 v[48:49], v[48:49], v[116:117]
	v_fma_f64 v[116:117], v[106:107], s[14:15], v[74:75]
	v_fma_f64 v[74:75], v[106:107], s[14:15], -v[74:75]
	v_add_f64 v[94:95], v[136:137], v[94:95]
	v_mul_f64 v[136:137], v[110:111], s[20:21]
	v_mul_f64 v[110:111], v[110:111], s[12:13]
	v_add_f64 v[87:88], v[87:88], v[150:151]
	v_mul_f64 v[150:151], v[66:67], s[4:5]
	v_mul_f64 v[66:67], v[66:67], s[24:25]
	v_add_f64 v[90:91], v[140:141], v[90:91]
	v_add_f64 v[128:129], v[146:147], v[128:129]
	v_fma_f64 v[132:133], v[114:115], s[4:5], v[136:137]
	v_fma_f64 v[104:105], v[114:115], s[24:25], v[110:111]
	v_fma_f64 v[110:111], v[114:115], s[24:25], -v[110:111]
	v_fma_f64 v[136:137], v[114:115], s[4:5], -v[136:137]
	v_mul_f64 v[114:115], v[83:84], s[12:13]
	v_fma_f64 v[138:139], v[64:65], s[26:27], v[150:151]
	v_fma_f64 v[150:151], v[64:65], s[20:21], v[150:151]
	;; [unrolled: 1-line block ×6, first 2 shown]
	v_fma_f64 v[148:149], v[100:101], s[4:5], -v[148:149]
	v_add_f64 v[132:133], v[132:133], v[144:145]
	v_mul_f64 v[144:145], v[83:84], s[10:11]
	v_add_f64 v[96:97], v[104:105], v[96:97]
	v_fma_f64 v[104:105], v[106:107], s[22:23], v[154:155]
	v_add_f64 v[44:45], v[110:111], v[44:45]
	v_mul_f64 v[110:111], v[83:84], s[34:35]
	v_mul_f64 v[83:84], v[83:84], s[16:17]
	v_add_f64 v[112:113], v[138:139], v[112:113]
	v_mul_f64 v[138:139], v[102:103], s[22:23]
	v_add_f64 v[130:131], v[150:151], v[130:131]
	;; [unrolled: 2-line block ×3, first 2 shown]
	v_fma_f64 v[126:127], v[72:73], s[30:31], v[156:157]
	v_add_f64 v[46:47], v[66:67], v[46:47]
	v_mul_f64 v[66:67], v[102:103], s[14:15]
	v_add_f64 v[52:53], v[64:65], v[52:53]
	v_fma_f64 v[64:65], v[72:73], s[18:19], v[108:109]
	v_mul_f64 v[102:103], v[102:103], s[6:7]
	v_add_f64 v[122:123], v[136:137], v[122:123]
	v_fma_f64 v[154:155], v[106:107], s[22:23], -v[154:155]
	v_fma_f64 v[108:109], v[72:73], s[34:35], v[108:109]
	v_fma_f64 v[156:157], v[72:73], s[10:11], v[156:157]
	v_fma_f64 v[106:107], v[106:107], s[24:25], -v[124:125]
	v_fma_f64 v[72:73], v[72:73], s[12:13], v[98:99]
	v_fma_f64 v[120:121], v[100:101], s[22:23], v[144:145]
	;; [unrolled: 1-line block ×5, first 2 shown]
	v_add_f64 v[104:105], v[104:105], v[132:133]
	v_add_f64 v[96:97], v[116:117], v[96:97]
	v_fma_f64 v[118:119], v[81:82], s[30:31], v[138:139]
	v_fma_f64 v[146:147], v[100:101], s[6:7], v[83:84]
	;; [unrolled: 1-line block ×4, first 2 shown]
	v_add_f64 v[112:113], v[126:127], v[112:113]
	v_fma_f64 v[126:127], v[100:101], s[14:15], v[110:111]
	v_fma_f64 v[132:133], v[81:82], s[18:19], v[66:67]
	v_fma_f64 v[83:84], v[100:101], s[6:7], -v[83:84]
	v_add_f64 v[116:117], v[64:65], v[54:55]
	v_fma_f64 v[150:151], v[81:82], s[28:29], v[102:103]
	v_fma_f64 v[102:103], v[81:82], s[16:17], v[102:103]
	v_add_f64 v[122:123], v[154:155], v[122:123]
	v_add_f64 v[154:155], v[74:75], v[44:45]
	;; [unrolled: 1-line block ×4, first 2 shown]
	v_fma_f64 v[110:111], v[100:101], s[14:15], -v[110:111]
	v_fma_f64 v[66:67], v[81:82], s[34:35], v[66:67]
	v_fma_f64 v[114:115], v[100:101], s[24:25], -v[114:115]
	v_add_f64 v[106:107], v[106:107], v[48:49]
	v_add_f64 v[156:157], v[72:73], v[52:53]
	v_fma_f64 v[100:101], v[100:101], s[22:23], -v[144:145]
	v_fma_f64 v[138:139], v[81:82], s[10:11], v[138:139]
	v_add_f64 v[44:45], v[60:61], v[56:57]
	v_add_f64 v[46:47], v[62:63], v[58:59]
	;; [unrolled: 1-line block ×22, first 2 shown]
	s_mov_b32 s1, exec_lo
	ds_write_b128 v77, v[44:47]
	ds_write_b128 v77, v[48:51] offset:16
	ds_write_b128 v77, v[52:55] offset:32
	;; [unrolled: 1-line block ×10, first 2 shown]
	v_cmpx_gt_u32_e32 63, v76
	s_cbranch_execz .LBB0_15
; %bb.14:
	v_add_f64 v[70:71], v[8:9], -v[32:33]
	v_add_f64 v[87:88], v[10:11], -v[34:35]
	;; [unrolled: 1-line block ×3, first 2 shown]
	v_add_f64 v[74:75], v[10:11], v[34:35]
	v_add_f64 v[85:86], v[6:7], -v[38:39]
	v_add_f64 v[83:84], v[8:9], v[32:33]
	v_add_f64 v[10:11], v[2:3], v[10:11]
	v_add_f64 v[64:65], v[12:13], -v[40:41]
	v_add_f64 v[68:69], v[6:7], v[38:39]
	v_add_f64 v[66:67], v[14:15], -v[42:43]
	v_add_f64 v[72:73], v[4:5], v[36:37]
	v_add_f64 v[8:9], v[0:1], v[8:9]
	v_add_f64 v[56:57], v[24:25], -v[28:29]
	v_add_f64 v[60:61], v[14:15], v[42:43]
	v_add_f64 v[58:59], v[26:27], -v[30:31]
	v_add_f64 v[62:63], v[12:13], v[40:41]
	v_add_f64 v[52:53], v[26:27], v[30:31]
	v_add_f64 v[54:55], v[24:25], v[28:29]
	v_add_f64 v[50:51], v[22:23], -v[18:19]
	v_add_f64 v[46:47], v[20:21], v[16:17]
	v_add_f64 v[48:49], v[20:21], -v[16:17]
	v_add_f64 v[44:45], v[22:23], v[18:19]
	v_mul_f64 v[90:91], v[70:71], s[10:11]
	v_mul_f64 v[92:93], v[87:88], s[10:11]
	;; [unrolled: 1-line block ×9, first 2 shown]
	v_add_f64 v[6:7], v[10:11], v[6:7]
	v_mul_f64 v[102:103], v[64:65], s[12:13]
	v_mul_f64 v[112:113], v[66:67], s[12:13]
	;; [unrolled: 1-line block ×5, first 2 shown]
	v_add_f64 v[4:5], v[8:9], v[4:5]
	v_mul_f64 v[8:9], v[85:86], s[30:31]
	v_mul_f64 v[100:101], v[56:57], s[34:35]
	;; [unrolled: 1-line block ×6, first 2 shown]
	v_fma_f64 v[120:121], v[74:75], s[22:23], v[90:91]
	v_fma_f64 v[90:91], v[74:75], s[22:23], -v[90:91]
	v_fma_f64 v[124:125], v[83:84], s[22:23], -v[92:93]
	v_fma_f64 v[92:93], v[83:84], s[22:23], v[92:93]
	v_fma_f64 v[136:137], v[74:75], s[24:25], v[94:95]
	v_fma_f64 v[94:95], v[74:75], s[24:25], -v[94:95]
	v_fma_f64 v[146:147], v[68:69], s[4:5], v[104:105]
	v_fma_f64 v[104:105], v[68:69], s[4:5], -v[104:105]
	v_fma_f64 v[138:139], v[83:84], s[24:25], -v[96:97]
	v_fma_f64 v[96:97], v[83:84], s[24:25], v[96:97]
	v_fma_f64 v[148:149], v[72:73], s[4:5], -v[114:115]
	v_fma_f64 v[114:115], v[72:73], s[4:5], v[114:115]
	v_fma_f64 v[154:155], v[68:69], s[6:7], v[122:123]
	;; [unrolled: 1-line block ×3, first 2 shown]
	v_add_f64 v[6:7], v[6:7], v[14:15]
	v_fma_f64 v[14:15], v[83:84], s[6:7], -v[126:127]
	v_fma_f64 v[122:123], v[68:69], s[6:7], -v[122:123]
	;; [unrolled: 1-line block ×3, first 2 shown]
	v_add_f64 v[4:5], v[4:5], v[12:13]
	v_fma_f64 v[128:129], v[72:73], s[6:7], v[128:129]
	v_mul_f64 v[132:133], v[66:67], s[20:21]
	v_mul_f64 v[142:143], v[56:57], s[20:21]
	v_add_f64 v[120:121], v[2:3], v[120:121]
	v_add_f64 v[90:91], v[2:3], v[90:91]
	;; [unrolled: 1-line block ×6, first 2 shown]
	v_mul_f64 v[150:151], v[58:59], s[20:21]
	v_fma_f64 v[108:109], v[74:75], s[6:7], -v[108:109]
	v_add_f64 v[12:13], v[0:1], v[138:139]
	v_fma_f64 v[138:139], v[68:69], s[22:23], v[134:135]
	v_add_f64 v[96:97], v[0:1], v[96:97]
	v_mul_f64 v[10:11], v[50:51], s[34:35]
	v_fma_f64 v[134:135], v[68:69], s[22:23], -v[134:135]
	v_add_f64 v[156:157], v[2:3], v[156:157]
	v_add_f64 v[6:7], v[6:7], v[26:27]
	v_add_f64 v[14:15], v[0:1], v[14:15]
	v_mul_f64 v[140:141], v[58:59], s[10:11]
	v_mul_f64 v[26:27], v[87:88], s[18:19]
	v_add_f64 v[4:5], v[4:5], v[24:25]
	v_mul_f64 v[24:25], v[87:88], s[20:21]
	v_mul_f64 v[116:117], v[48:49], s[34:35]
	;; [unrolled: 1-line block ×3, first 2 shown]
	v_add_f64 v[120:121], v[146:147], v[120:121]
	v_fma_f64 v[146:147], v[60:61], s[24:25], v[102:103]
	v_fma_f64 v[102:103], v[60:61], s[24:25], -v[102:103]
	v_add_f64 v[90:91], v[104:105], v[90:91]
	v_add_f64 v[124:125], v[148:149], v[124:125]
	v_fma_f64 v[148:149], v[62:63], s[24:25], -v[112:113]
	v_fma_f64 v[112:113], v[62:63], s[24:25], v[112:113]
	v_add_f64 v[92:93], v[114:115], v[92:93]
	v_fma_f64 v[104:105], v[72:73], s[22:23], -v[8:9]
	v_fma_f64 v[114:115], v[60:61], s[4:5], v[130:131]
	v_add_f64 v[136:137], v[154:155], v[136:137]
	v_fma_f64 v[130:131], v[60:61], s[4:5], -v[130:131]
	v_add_f64 v[94:95], v[122:123], v[94:95]
	v_fma_f64 v[122:123], v[52:53], s[14:15], v[100:101]
	v_fma_f64 v[100:101], v[52:53], s[14:15], -v[100:101]
	v_add_f64 v[96:97], v[128:129], v[96:97]
	v_fma_f64 v[128:129], v[54:55], s[14:15], -v[110:111]
	v_fma_f64 v[110:111], v[54:55], s[14:15], v[110:111]
	v_add_f64 v[138:139], v[138:139], v[156:157]
	v_fma_f64 v[8:9], v[72:73], s[22:23], v[8:9]
	v_fma_f64 v[154:155], v[62:63], s[4:5], -v[132:133]
	v_fma_f64 v[132:133], v[62:63], s[4:5], v[132:133]
	v_add_f64 v[108:109], v[2:3], v[108:109]
	v_add_f64 v[120:121], v[146:147], v[120:121]
	;; [unrolled: 1-line block ×4, first 2 shown]
	v_fma_f64 v[102:103], v[83:84], s[6:7], v[126:127]
	v_add_f64 v[124:125], v[148:149], v[124:125]
	v_fma_f64 v[126:127], v[52:53], s[22:23], v[118:119]
	v_add_f64 v[92:93], v[112:113], v[92:93]
	;; [unrolled: 2-line block ×3, first 2 shown]
	v_add_f64 v[114:115], v[114:115], v[136:137]
	v_fma_f64 v[136:137], v[62:63], s[14:15], -v[152:153]
	v_fma_f64 v[118:119], v[52:53], s[22:23], -v[118:119]
	v_add_f64 v[94:95], v[130:131], v[94:95]
	v_fma_f64 v[130:131], v[46:47], s[14:15], -v[10:11]
	v_add_f64 v[4:5], v[4:5], v[20:21]
	v_fma_f64 v[20:21], v[83:84], s[4:5], v[24:25]
	v_fma_f64 v[148:149], v[54:55], s[22:23], -v[140:141]
	v_fma_f64 v[140:141], v[54:55], s[22:23], v[140:141]
	v_fma_f64 v[22:23], v[83:84], s[14:15], v[26:27]
	v_fma_f64 v[26:27], v[83:84], s[14:15], -v[26:27]
	v_add_f64 v[96:97], v[132:133], v[96:97]
	v_add_f64 v[108:109], v[134:135], v[108:109]
	;; [unrolled: 1-line block ×3, first 2 shown]
	v_mul_f64 v[134:135], v[85:86], s[12:13]
	v_add_f64 v[90:91], v[100:101], v[90:91]
	v_add_f64 v[100:101], v[0:1], v[102:103]
	;; [unrolled: 1-line block ×3, first 2 shown]
	v_mul_f64 v[124:125], v[70:71], s[18:19]
	v_add_f64 v[92:93], v[110:111], v[92:93]
	v_fma_f64 v[110:111], v[52:53], s[4:5], v[142:143]
	v_add_f64 v[112:113], v[112:113], v[138:139]
	v_fma_f64 v[128:129], v[54:55], s[4:5], -v[150:151]
	v_add_f64 v[14:15], v[136:137], v[14:15]
	v_mul_f64 v[70:71], v[70:71], s[20:21]
	v_add_f64 v[94:95], v[118:119], v[94:95]
	v_fma_f64 v[118:119], v[46:47], s[14:15], v[10:11]
	v_fma_f64 v[10:11], v[62:63], s[14:15], v[152:153]
	v_mul_f64 v[85:86], v[85:86], s[18:19]
	v_add_f64 v[6:7], v[6:7], v[18:19]
	v_add_f64 v[4:5], v[4:5], v[16:17]
	v_fma_f64 v[104:105], v[44:45], s[14:15], v[116:117]
	v_fma_f64 v[87:88], v[44:45], s[14:15], -v[116:117]
	v_fma_f64 v[116:117], v[60:61], s[14:15], -v[144:145]
	;; [unrolled: 1-line block ×3, first 2 shown]
	v_add_f64 v[16:17], v[0:1], v[20:21]
	v_add_f64 v[96:97], v[140:141], v[96:97]
	v_fma_f64 v[140:141], v[72:73], s[24:25], v[134:135]
	v_add_f64 v[8:9], v[8:9], v[100:101]
	v_add_f64 v[18:19], v[0:1], v[22:23]
	v_fma_f64 v[132:133], v[74:75], s[14:15], -v[124:125]
	v_fma_f64 v[124:125], v[74:75], s[14:15], v[124:125]
	v_add_f64 v[26:27], v[0:1], v[26:27]
	v_add_f64 v[110:111], v[110:111], v[112:113]
	v_mul_f64 v[112:113], v[81:82], s[12:13]
	v_add_f64 v[128:129], v[128:129], v[14:15]
	v_mul_f64 v[14:15], v[81:82], s[18:19]
	v_fma_f64 v[81:82], v[74:75], s[4:5], -v[70:71]
	v_fma_f64 v[70:71], v[74:75], s[4:5], v[70:71]
	v_mul_f64 v[74:75], v[66:67], s[30:31]
	v_mul_f64 v[66:67], v[66:67], s[16:17]
	v_fma_f64 v[144:145], v[72:73], s[14:15], v[85:86]
	v_add_f64 v[6:7], v[6:7], v[30:31]
	v_add_f64 v[4:5], v[4:5], v[28:29]
	;; [unrolled: 1-line block ×3, first 2 shown]
	v_mul_f64 v[106:107], v[50:51], s[16:17]
	v_mul_f64 v[102:103], v[48:49], s[12:13]
	v_add_f64 v[114:115], v[126:127], v[114:115]
	v_mul_f64 v[126:127], v[50:51], s[12:13]
	v_mul_f64 v[30:31], v[48:49], s[26:27]
	v_add_f64 v[8:9], v[10:11], v[8:9]
	v_fma_f64 v[10:11], v[83:84], s[4:5], -v[24:25]
	v_mul_f64 v[24:25], v[64:65], s[30:31]
	v_add_f64 v[132:133], v[2:3], v[132:133]
	v_mul_f64 v[64:65], v[64:65], s[16:17]
	v_add_f64 v[22:23], v[2:3], v[124:125]
	v_fma_f64 v[83:84], v[68:69], s[24:25], -v[112:113]
	v_fma_f64 v[20:21], v[68:69], s[24:25], v[112:113]
	v_fma_f64 v[142:143], v[68:69], s[14:15], -v[14:15]
	v_add_f64 v[81:82], v[2:3], v[81:82]
	v_fma_f64 v[112:113], v[72:73], s[24:25], -v[134:135]
	v_fma_f64 v[14:15], v[68:69], s[14:15], v[14:15]
	v_add_f64 v[2:3], v[2:3], v[70:71]
	v_fma_f64 v[68:69], v[72:73], s[14:15], -v[85:86]
	v_mul_f64 v[70:71], v[58:59], s[28:29]
	v_mul_f64 v[58:59], v[58:59], s[12:13]
	v_add_f64 v[16:17], v[144:145], v[16:17]
	v_fma_f64 v[85:86], v[62:63], s[22:23], v[74:75]
	v_add_f64 v[18:19], v[140:141], v[18:19]
	v_add_f64 v[6:7], v[6:7], v[42:43]
	;; [unrolled: 1-line block ×3, first 2 shown]
	v_mul_f64 v[48:49], v[48:49], s[10:11]
	v_add_f64 v[108:109], v[116:117], v[108:109]
	v_add_f64 v[0:1], v[0:1], v[10:11]
	v_mul_f64 v[10:11], v[56:57], s[28:29]
	v_fma_f64 v[72:73], v[60:61], s[22:23], -v[24:25]
	v_mul_f64 v[56:57], v[56:57], s[12:13]
	v_fma_f64 v[124:125], v[60:61], s[6:7], -v[64:65]
	v_add_f64 v[83:84], v[83:84], v[132:133]
	v_fma_f64 v[132:133], v[62:63], s[6:7], v[66:67]
	v_fma_f64 v[24:25], v[60:61], s[22:23], v[24:25]
	v_add_f64 v[81:82], v[142:143], v[81:82]
	v_add_f64 v[20:21], v[20:21], v[22:23]
	v_fma_f64 v[22:23], v[62:63], s[22:23], -v[74:75]
	v_add_f64 v[26:27], v[112:113], v[26:27]
	v_fma_f64 v[28:29], v[60:61], s[6:7], v[64:65]
	v_add_f64 v[2:3], v[14:15], v[2:3]
	v_fma_f64 v[14:15], v[62:63], s[6:7], -v[66:67]
	v_mul_f64 v[60:61], v[50:51], s[26:27]
	v_mul_f64 v[50:51], v[50:51], s[10:11]
	v_fma_f64 v[74:75], v[54:55], s[24:25], v[58:59]
	v_fma_f64 v[66:67], v[54:55], s[6:7], v[70:71]
	v_add_f64 v[18:19], v[85:86], v[18:19]
	v_fma_f64 v[116:117], v[54:55], s[4:5], v[150:151]
	v_add_f64 v[12:13], v[154:155], v[12:13]
	v_add_f64 v[0:1], v[68:69], v[0:1]
	v_fma_f64 v[62:63], v[52:53], s[6:7], -v[10:11]
	v_fma_f64 v[10:11], v[52:53], s[6:7], v[10:11]
	v_fma_f64 v[68:69], v[52:53], s[24:25], -v[56:57]
	v_add_f64 v[38:39], v[6:7], v[38:39]
	v_add_f64 v[64:65], v[72:73], v[83:84]
	;; [unrolled: 1-line block ×6, first 2 shown]
	v_fma_f64 v[24:25], v[54:55], s[6:7], -v[70:71]
	v_add_f64 v[22:23], v[22:23], v[26:27]
	v_fma_f64 v[26:27], v[52:53], s[24:25], v[56:57]
	v_add_f64 v[2:3], v[28:29], v[2:3]
	v_fma_f64 v[28:29], v[54:55], s[24:25], -v[58:59]
	v_fma_f64 v[56:57], v[44:45], s[4:5], -v[30:31]
	v_fma_f64 v[70:71], v[46:47], s[22:23], v[50:51]
	v_fma_f64 v[40:41], v[44:45], s[24:25], -v[102:103]
	v_add_f64 v[42:43], v[138:139], v[108:109]
	v_add_f64 v[66:67], v[66:67], v[18:19]
	v_fma_f64 v[52:53], v[46:47], s[24:25], v[126:127]
	v_add_f64 v[54:55], v[116:117], v[8:9]
	v_add_f64 v[0:1], v[14:15], v[0:1]
	;; [unrolled: 1-line block ×3, first 2 shown]
	v_fma_f64 v[158:159], v[44:45], s[6:7], v[98:99]
	v_fma_f64 v[146:147], v[46:47], s[6:7], -v[106:107]
	v_fma_f64 v[98:99], v[44:45], s[6:7], -v[98:99]
	v_add_f64 v[58:59], v[62:63], v[64:65]
	v_fma_f64 v[64:65], v[44:45], s[22:23], -v[48:49]
	v_add_f64 v[16:17], v[74:75], v[16:17]
	v_add_f64 v[68:69], v[68:69], v[72:73]
	v_fma_f64 v[62:63], v[46:47], s[4:5], v[60:61]
	v_fma_f64 v[106:107], v[46:47], s[6:7], v[106:107]
	v_fma_f64 v[100:101], v[44:45], s[24:25], v[102:103]
	v_fma_f64 v[136:137], v[46:47], s[24:25], -v[126:127]
	v_fma_f64 v[72:73], v[44:45], s[4:5], v[30:31]
	v_add_f64 v[74:75], v[10:11], v[20:21]
	v_fma_f64 v[60:61], v[46:47], s[4:5], -v[60:61]
	v_add_f64 v[81:82], v[24:25], v[22:23]
	v_fma_f64 v[44:45], v[44:45], s[22:23], v[48:49]
	v_add_f64 v[48:49], v[26:27], v[2:3]
	v_fma_f64 v[46:47], v[46:47], s[22:23], -v[50:51]
	v_add_f64 v[30:31], v[38:39], v[34:35]
	v_add_f64 v[18:19], v[40:41], v[42:43]
	;; [unrolled: 1-line block ×22, first 2 shown]
	v_mad_i32_i24 v44, 0xb0, v80, 0
	v_add_f64 v[40:41], v[46:47], v[50:51]
	ds_write_b128 v44, v[28:31]
	ds_write_b128 v44, v[24:27] offset:16
	ds_write_b128 v44, v[20:23] offset:32
	;; [unrolled: 1-line block ×10, first 2 shown]
.LBB0_15:
	s_or_b32 exec_lo, exec_lo, s1
	v_add_nc_u32_e32 v72, 0xc6, v76
	v_mov_b32_e32 v0, 0xba2f
	v_add_nc_u32_e32 v83, 0x129, v76
	v_and_b32_e32 v81, 0xff, v76
	v_and_b32_e32 v84, 0xff, v80
	v_add_nc_u32_e32 v74, 0x18c, v76
	v_mul_u32_u24_sdwa v1, v72, v0 dst_sel:DWORD dst_unused:UNUSED_PAD src0_sel:WORD_0 src1_sel:DWORD
	v_mul_u32_u24_sdwa v2, v83, v0 dst_sel:DWORD dst_unused:UNUSED_PAD src0_sel:WORD_0 src1_sel:DWORD
	v_add_nc_u32_e32 v82, 0x1ef, v76
	v_mul_lo_u16 v3, 0x75, v84
	v_mov_b32_e32 v75, 5
	v_lshrrev_b32_e32 v91, 19, v1
	v_mul_lo_u16 v1, 0x75, v81
	v_lshrrev_b32_e32 v92, 19, v2
	v_lshrrev_b16 v3, 8, v3
	s_waitcnt lgkmcnt(0)
	v_mul_lo_u16 v2, v91, 11
	v_lshrrev_b16 v1, 8, v1
	v_mul_lo_u16 v4, v92, 11
	s_barrier
	buffer_gl0_inv
	v_sub_nc_u16 v94, v72, v2
	v_mul_u32_u24_sdwa v2, v74, v0 dst_sel:DWORD dst_unused:UNUSED_PAD src0_sel:WORD_0 src1_sel:DWORD
	v_sub_nc_u16 v5, v76, v1
	v_mul_u32_u24_sdwa v0, v82, v0 dst_sel:DWORD dst_unused:UNUSED_PAD src0_sel:WORD_0 src1_sel:DWORD
	v_sub_nc_u16 v95, v83, v4
	v_lshlrev_b32_sdwa v4, v75, v94 dst_sel:DWORD dst_unused:UNUSED_PAD src0_sel:DWORD src1_sel:WORD_0
	v_lshrrev_b32_e32 v93, 19, v2
	v_sub_nc_u16 v2, v80, v3
	v_lshrrev_b16 v5, 1, v5
	v_lshrrev_b32_e32 v101, 19, v0
	v_lshlrev_b32_sdwa v8, v75, v95 dst_sel:DWORD dst_unused:UNUSED_PAD src0_sel:DWORD src1_sel:WORD_0
	v_mul_lo_u16 v9, v93, 11
	v_lshrrev_b16 v0, 1, v2
	v_and_b32_e32 v2, 0x7f, v5
	s_clause 0x3
	global_load_dwordx4 v[16:19], v4, s[8:9]
	global_load_dwordx4 v[4:7], v4, s[8:9] offset:16
	global_load_dwordx4 v[48:51], v8, s[8:9]
	global_load_dwordx4 v[20:23], v8, s[8:9] offset:16
	v_sub_nc_u16 v96, v74, v9
	v_and_b32_e32 v0, 0x7f, v0
	v_add_nc_u16 v1, v2, v1
	v_mul_lo_u16 v9, v101, 11
	v_mad_i32_i24 v85, 0xffffff60, v76, v77
	v_mov_b32_e32 v77, 0xf83f
	v_add_nc_u16 v0, v0, v3
	v_lshrrev_b16 v98, 3, v1
	v_lshlrev_b32_sdwa v1, v75, v96 dst_sel:DWORD dst_unused:UNUSED_PAD src0_sel:DWORD src1_sel:WORD_0
	s_clause 0x1
	global_load_dwordx4 v[44:47], v1, s[8:9]
	global_load_dwordx4 v[32:35], v1, s[8:9] offset:16
	v_lshrrev_b16 v97, 3, v0
	v_mul_lo_u16 v0, v98, 11
	v_sub_nc_u16 v102, v82, v9
	v_mov_b32_e32 v73, 4
	v_mul_lo_u16 v81, 0xf9, v81
	v_mul_lo_u16 v1, v97, 11
	v_sub_nc_u16 v100, v76, v0
	v_lshlrev_b32_sdwa v2, v75, v102 dst_sel:DWORD dst_unused:UNUSED_PAD src0_sel:DWORD src1_sel:WORD_0
	v_mul_lo_u16 v84, 0xf9, v84
	v_mul_u32_u24_sdwa v87, v72, v77 dst_sel:DWORD dst_unused:UNUSED_PAD src0_sel:WORD_0 src1_sel:DWORD
	v_sub_nc_u16 v99, v80, v1
	v_lshlrev_b32_sdwa v0, v75, v100 dst_sel:DWORD dst_unused:UNUSED_PAD src0_sel:DWORD src1_sel:BYTE_0
	s_clause 0x1
	global_load_dwordx4 v[40:43], v2, s[8:9]
	global_load_dwordx4 v[36:39], v2, s[8:9] offset:16
	v_mul_u32_u24_sdwa v151, v82, v77 dst_sel:DWORD dst_unused:UNUSED_PAD src0_sel:WORD_0 src1_sel:DWORD
	v_lshlrev_b32_sdwa v1, v75, v99 dst_sel:DWORD dst_unused:UNUSED_PAD src0_sel:DWORD src1_sel:BYTE_0
	s_clause 0x3
	global_load_dwordx4 v[28:31], v0, s[8:9]
	global_load_dwordx4 v[24:27], v0, s[8:9] offset:16
	global_load_dwordx4 v[12:15], v1, s[8:9]
	global_load_dwordx4 v[8:11], v1, s[8:9] offset:16
	ds_read_b128 v[64:67], v89 offset:12672
	ds_read_b128 v[60:63], v89 offset:14256
	;; [unrolled: 1-line block ×4, first 2 shown]
	v_mul_u32_u24_sdwa v88, v83, v77 dst_sel:DWORD dst_unused:UNUSED_PAD src0_sel:WORD_0 src1_sel:DWORD
	v_mul_u32_u24_sdwa v90, v74, v77 dst_sel:DWORD dst_unused:UNUSED_PAD src0_sel:WORD_0 src1_sel:DWORD
	v_lshrrev_b16 v77, 13, v81
	v_lshrrev_b16 v81, 13, v84
	v_lshrrev_b32_e32 v84, 21, v87
	v_lshrrev_b32_e32 v87, 21, v151
	v_mul_u32_u24_e32 v151, 0x210, v91
	v_mul_u32_u24_e32 v152, 0x210, v92
	v_lshlrev_b32_sdwa v94, v73, v94 dst_sel:DWORD dst_unused:UNUSED_PAD src0_sel:DWORD src1_sel:WORD_0
	v_lshlrev_b32_sdwa v95, v73, v95 dst_sel:DWORD dst_unused:UNUSED_PAD src0_sel:DWORD src1_sel:WORD_0
	v_mul_u32_u24_e32 v157, 0x210, v101
	v_lshlrev_b32_sdwa v158, v73, v102 dst_sel:DWORD dst_unused:UNUSED_PAD src0_sel:DWORD src1_sel:WORD_0
	ds_read_b128 v[0:3], v89
	ds_read_b128 v[52:55], v89 offset:11088
	ds_read_b128 v[103:106], v89 offset:19008
	;; [unrolled: 1-line block ×7, first 2 shown]
	v_add3_u32 v164, 0, v151, v94
	v_add3_u32 v165, 0, v152, v95
	v_lshl_add_u32 v86, v80, 4, 0
	ds_read_b128 v[127:130], v85 offset:9504
	ds_read_b128 v[131:134], v86
	ds_read_b128 v[135:138], v85 offset:3168
	ds_read_b128 v[139:142], v85 offset:4752
	;; [unrolled: 1-line block ×4, first 2 shown]
	v_mov_b32_e32 v155, 0x210
	v_mul_u32_u24_e32 v156, 0x210, v93
	v_lshlrev_b32_sdwa v96, v73, v96 dst_sel:DWORD dst_unused:UNUSED_PAD src0_sel:DWORD src1_sel:WORD_0
	v_add3_u32 v167, 0, v157, v158
	v_lshlrev_b32_sdwa v100, v73, v100 dst_sel:DWORD dst_unused:UNUSED_PAD src0_sel:DWORD src1_sel:BYTE_0
	v_mul_u32_u24_sdwa v168, v97, v155 dst_sel:DWORD dst_unused:UNUSED_PAD src0_sel:WORD_0 src1_sel:DWORD
	v_mul_u32_u24_sdwa v98, v98, v155 dst_sel:DWORD dst_unused:UNUSED_PAD src0_sel:WORD_0 src1_sel:DWORD
	v_add3_u32 v166, 0, v156, v96
	v_lshlrev_b32_sdwa v169, v73, v99 dst_sel:DWORD dst_unused:UNUSED_PAD src0_sel:DWORD src1_sel:BYTE_0
	s_mov_b32 s4, 0xe8584caa
	s_mov_b32 s5, 0xbfebb67a
	v_add3_u32 v170, 0, v98, v100
	s_mov_b32 s7, 0x3febb67a
	s_mov_b32 s6, s4
	v_mul_lo_u16 v91, v77, 33
	v_mul_lo_u16 v92, v81, 33
	v_lshrrev_b32_e32 v88, 21, v88
	v_mul_lo_u16 v93, v84, 33
	v_lshrrev_b32_e32 v90, 21, v90
	v_sub_nc_u16 v91, v76, v91
	v_sub_nc_u16 v92, v80, v92
	v_mul_lo_u16 v159, v88, 33
	v_sub_nc_u16 v93, v72, v93
	v_mul_lo_u16 v160, v90, 33
	v_lshlrev_b32_sdwa v162, v75, v91 dst_sel:DWORD dst_unused:UNUSED_PAD src0_sel:DWORD src1_sel:BYTE_0
	v_lshlrev_b32_sdwa v163, v75, v92 dst_sel:DWORD dst_unused:UNUSED_PAD src0_sel:DWORD src1_sel:BYTE_0
	s_waitcnt vmcnt(0) lgkmcnt(0)
	s_barrier
	buffer_gl0_inv
	v_mul_lo_u16 v161, v87, 33
	s_add_u32 s1, s8, 0x6eb0
	v_mul_f64 v[94:95], v[66:67], v[18:19]
	v_mul_f64 v[18:19], v[64:65], v[18:19]
	v_mul_f64 v[101:102], v[70:71], v[6:7]
	v_mul_f64 v[6:7], v[68:69], v[6:7]
	v_mul_f64 v[151:152], v[62:63], v[50:51]
	v_mul_f64 v[50:51], v[60:61], v[50:51]
	v_mul_f64 v[153:154], v[58:59], v[22:23]
	v_mul_f64 v[22:23], v[56:57], v[22:23]
	v_mul_f64 v[96:97], v[113:114], v[46:47]
	v_mul_f64 v[46:47], v[111:112], v[46:47]
	v_mul_f64 v[98:99], v[121:122], v[34:35]
	v_mul_f64 v[34:35], v[119:120], v[34:35]
	v_fma_f64 v[64:65], v[64:65], v[16:17], v[94:95]
	v_fma_f64 v[16:17], v[66:67], v[16:17], -v[18:19]
	v_fma_f64 v[6:7], v[70:71], v[4:5], -v[6:7]
	v_mul_f64 v[155:156], v[117:118], v[42:43]
	v_mul_f64 v[157:158], v[125:126], v[38:39]
	;; [unrolled: 1-line block ×3, first 2 shown]
	v_fma_f64 v[38:39], v[68:69], v[4:5], v[101:102]
	v_fma_f64 v[4:5], v[60:61], v[48:49], v[151:152]
	v_fma_f64 v[48:49], v[62:63], v[48:49], -v[50:51]
	v_fma_f64 v[50:51], v[56:57], v[20:21], v[153:154]
	v_mul_f64 v[56:57], v[129:130], v[30:31]
	v_mul_f64 v[60:61], v[105:106], v[26:27]
	;; [unrolled: 1-line block ×9, first 2 shown]
	v_fma_f64 v[20:21], v[58:59], v[20:21], -v[22:23]
	v_fma_f64 v[22:23], v[111:112], v[44:45], v[96:97]
	v_fma_f64 v[44:45], v[113:114], v[44:45], -v[46:47]
	v_fma_f64 v[46:47], v[119:120], v[32:33], v[98:99]
	v_fma_f64 v[32:33], v[121:122], v[32:33], -v[34:35]
	v_add_f64 v[70:71], v[137:138], v[16:17]
	v_fma_f64 v[34:35], v[115:116], v[40:41], v[155:156]
	v_add_f64 v[68:69], v[16:17], -v[6:7]
	v_fma_f64 v[18:19], v[125:126], v[36:37], -v[18:19]
	v_add_f64 v[58:59], v[64:65], v[38:39]
	v_add_f64 v[16:17], v[16:17], v[6:7]
	v_fma_f64 v[56:57], v[127:128], v[28:29], v[56:57]
	v_fma_f64 v[60:61], v[103:104], v[24:25], v[60:61]
	v_fma_f64 v[28:29], v[129:130], v[28:29], -v[30:31]
	v_fma_f64 v[26:27], v[105:106], v[24:25], -v[26:27]
	v_fma_f64 v[24:25], v[52:53], v[12:13], v[62:63]
	v_fma_f64 v[30:31], v[107:108], v[8:9], v[66:67]
	v_fma_f64 v[14:15], v[54:55], v[12:13], -v[14:15]
	v_fma_f64 v[52:53], v[109:110], v[8:9], -v[10:11]
	;; [unrolled: 1-line block ×3, first 2 shown]
	v_fma_f64 v[42:43], v[123:124], v[36:37], v[157:158]
	v_add_f64 v[36:37], v[135:136], v[64:65]
	v_add_f64 v[8:9], v[139:140], v[4:5]
	;; [unrolled: 1-line block ×5, first 2 shown]
	v_add_f64 v[62:63], v[48:49], -v[20:21]
	v_add_f64 v[48:49], v[48:49], v[20:21]
	v_add_f64 v[94:95], v[22:23], v[46:47]
	v_add_f64 v[96:97], v[44:45], -v[32:33]
	v_add_f64 v[98:99], v[145:146], v[44:45]
	v_add_f64 v[44:45], v[44:45], v[32:33]
	v_add_f64 v[54:55], v[64:65], -v[38:39]
	v_add_f64 v[64:65], v[4:5], -v[50:51]
	v_add_f64 v[104:105], v[56:57], v[60:61]
	v_add_f64 v[100:101], v[22:23], -v[46:47]
	v_add_f64 v[108:109], v[28:29], v[26:27]
	v_add_f64 v[22:23], v[147:148], v[34:35]
	;; [unrolled: 1-line block ×5, first 2 shown]
	v_add_f64 v[106:107], v[40:41], -v[18:19]
	v_add_f64 v[102:103], v[34:35], v[42:43]
	v_add_f64 v[110:111], v[149:150], v[40:41]
	;; [unrolled: 1-line block ×5, first 2 shown]
	v_fma_f64 v[50:51], v[10:11], -0.5, v[139:140]
	v_add_f64 v[10:11], v[12:13], v[20:21]
	v_add_f64 v[12:13], v[66:67], v[46:47]
	;; [unrolled: 1-line block ×3, first 2 shown]
	v_add_f64 v[46:47], v[28:29], -v[26:27]
	v_add_f64 v[28:29], v[2:3], v[28:29]
	v_add_f64 v[116:117], v[34:35], -v[42:43]
	v_fma_f64 v[34:35], v[58:59], -0.5, v[135:136]
	v_add_f64 v[56:57], v[56:57], -v[60:61]
	v_fma_f64 v[70:71], v[104:105], -0.5, v[0:1]
	v_fma_f64 v[36:37], v[16:17], -0.5, v[137:138]
	;; [unrolled: 1-line block ×4, first 2 shown]
	v_add_f64 v[48:49], v[131:132], v[24:25]
	v_add_f64 v[66:67], v[133:134], v[14:15]
	v_add_f64 v[108:109], v[14:15], -v[52:53]
	v_fma_f64 v[112:113], v[112:113], -0.5, v[131:132]
	v_add_f64 v[118:119], v[24:25], -v[30:31]
	v_fma_f64 v[114:115], v[114:115], -0.5, v[133:134]
	v_fma_f64 v[94:95], v[94:95], -0.5, v[143:144]
	v_add_f64 v[14:15], v[98:99], v[32:33]
	v_fma_f64 v[98:99], v[44:45], -0.5, v[145:146]
	v_fma_f64 v[102:103], v[102:103], -0.5, v[147:148]
	v_add_f64 v[2:3], v[110:111], v[18:19]
	v_fma_f64 v[110:111], v[40:41], -0.5, v[149:150]
	v_add_f64 v[24:25], v[38:39], v[60:61]
	v_add_f64 v[0:1], v[22:23], v[42:43]
	;; [unrolled: 1-line block ×3, first 2 shown]
	v_fma_f64 v[16:17], v[68:69], s[4:5], v[34:35]
	v_fma_f64 v[20:21], v[68:69], s[6:7], v[34:35]
	;; [unrolled: 1-line block ×8, first 2 shown]
	v_add_f64 v[28:29], v[48:49], v[30:31]
	v_add_f64 v[30:31], v[66:67], v[52:53]
	v_fma_f64 v[40:41], v[108:109], s[4:5], v[112:113]
	v_fma_f64 v[42:43], v[118:119], s[6:7], v[114:115]
	;; [unrolled: 1-line block ×16, first 2 shown]
	v_add3_u32 v94, 0, v168, v169
	ds_write_b128 v170, v[24:27]
	ds_write_b128 v170, v[32:35] offset:176
	ds_write_b128 v170, v[36:39] offset:352
	ds_write_b128 v94, v[28:31]
	ds_write_b128 v94, v[40:43] offset:176
	ds_write_b128 v94, v[44:47] offset:352
	;; [unrolled: 3-line block ×6, first 2 shown]
	v_sub_nc_u16 v52, v83, v159
	s_waitcnt lgkmcnt(0)
	s_barrier
	buffer_gl0_inv
	s_clause 0x1
	global_load_dwordx4 v[12:15], v162, s[8:9] offset:352
	global_load_dwordx4 v[8:11], v162, s[8:9] offset:368
	v_lshlrev_b32_sdwa v20, v75, v93 dst_sel:DWORD dst_unused:UNUSED_PAD src0_sel:DWORD src1_sel:WORD_0
	s_clause 0x1
	global_load_dwordx4 v[0:3], v163, s[8:9] offset:352
	global_load_dwordx4 v[4:7], v163, s[8:9] offset:368
	v_sub_nc_u16 v53, v74, v160
	v_lshlrev_b32_sdwa v24, v75, v52 dst_sel:DWORD dst_unused:UNUSED_PAD src0_sel:DWORD src1_sel:WORD_0
	global_load_dwordx4 v[16:19], v20, s[8:9] offset:352
	v_sub_nc_u16 v54, v82, v161
	global_load_dwordx4 v[20:23], v20, s[8:9] offset:368
	v_lshlrev_b32_sdwa v32, v75, v53 dst_sel:DWORD dst_unused:UNUSED_PAD src0_sel:DWORD src1_sel:WORD_0
	s_clause 0x1
	global_load_dwordx4 v[28:31], v24, s[8:9] offset:352
	global_load_dwordx4 v[24:27], v24, s[8:9] offset:368
	v_mov_b32_e32 v50, 0xa57f
	v_lshlrev_b32_sdwa v40, v75, v54 dst_sel:DWORD dst_unused:UNUSED_PAD src0_sel:DWORD src1_sel:WORD_0
	s_clause 0x3
	global_load_dwordx4 v[36:39], v32, s[8:9] offset:352
	global_load_dwordx4 v[32:35], v32, s[8:9] offset:368
	;; [unrolled: 1-line block ×4, first 2 shown]
	v_lshlrev_b32_e32 v48, 1, v76
	v_mov_b32_e32 v49, 0
	v_mul_u32_u24_sdwa v56, v72, v50 dst_sel:DWORD dst_unused:UNUSED_PAD src0_sel:WORD_0 src1_sel:DWORD
	v_mul_u32_u24_sdwa v57, v83, v50 dst_sel:DWORD dst_unused:UNUSED_PAD src0_sel:WORD_0 src1_sel:DWORD
	v_mov_b32_e32 v55, 0x630
	v_mul_u32_u24_sdwa v58, v74, v50 dst_sel:DWORD dst_unused:UNUSED_PAD src0_sel:WORD_0 src1_sel:DWORD
	v_mul_u32_u24_sdwa v59, v82, v50 dst_sel:DWORD dst_unused:UNUSED_PAD src0_sel:WORD_0 src1_sel:DWORD
	v_lshlrev_b64 v[50:51], 4, v[48:49]
	v_lshrrev_b32_e32 v48, 22, v56
	v_lshrrev_b32_e32 v56, 22, v57
	;; [unrolled: 1-line block ×4, first 2 shown]
	v_mul_u32_u24_sdwa v59, v77, v55 dst_sel:DWORD dst_unused:UNUSED_PAD src0_sel:WORD_0 src1_sel:DWORD
	v_mul_u32_u24_sdwa v60, v81, v55 dst_sel:DWORD dst_unused:UNUSED_PAD src0_sel:WORD_0 src1_sel:DWORD
	v_mul_lo_u16 v48, 0x63, v48
	v_mul_lo_u16 v55, 0x63, v56
	;; [unrolled: 1-line block ×3, first 2 shown]
	v_lshlrev_b32_sdwa v57, v73, v92 dst_sel:DWORD dst_unused:UNUSED_PAD src0_sel:DWORD src1_sel:BYTE_0
	v_mul_u32_u24_e32 v61, 0x630, v84
	v_sub_nc_u16 v48, v72, v48
	v_sub_nc_u16 v77, v83, v55
	v_lshlrev_b32_sdwa v55, v73, v91 dst_sel:DWORD dst_unused:UNUSED_PAD src0_sel:DWORD src1_sel:BYTE_0
	v_mul_u32_u24_e32 v65, 0x630, v88
	v_lshlrev_b32_sdwa v62, v73, v93 dst_sel:DWORD dst_unused:UNUSED_PAD src0_sel:DWORD src1_sel:WORD_0
	v_lshlrev_b32_sdwa v66, v73, v52 dst_sel:DWORD dst_unused:UNUSED_PAD src0_sel:DWORD src1_sel:WORD_0
	v_mul_lo_u16 v75, 0x63, v58
	v_sub_nc_u16 v81, v74, v56
	v_lshlrev_b32_sdwa v70, v73, v53 dst_sel:DWORD dst_unused:UNUSED_PAD src0_sel:DWORD src1_sel:WORD_0
	v_lshlrev_b32_sdwa v73, v73, v54 dst_sel:DWORD dst_unused:UNUSED_PAD src0_sel:DWORD src1_sel:WORD_0
	v_and_b32_e32 v52, 0xffff, v48
	v_add3_u32 v48, 0, v59, v55
	ds_read_b128 v[53:56], v85 offset:9504
	v_add3_u32 v84, 0, v60, v57
	ds_read_b128 v[57:60], v89 offset:19008
	v_add3_u32 v160, 0, v61, v62
	ds_read_b128 v[61:64], v89 offset:11088
	v_add3_u32 v161, 0, v65, v66
	ds_read_b128 v[65:68], v89 offset:20592
	v_mul_u32_u24_e32 v69, 0x630, v90
	ds_read_b128 v[90:93], v89 offset:12672
	ds_read_b128 v[94:97], v89 offset:14256
	;; [unrolled: 1-line block ×8, first 2 shown]
	ds_read_b128 v[122:125], v89
	ds_read_b128 v[126:129], v86
	ds_read_b128 v[130:133], v85 offset:3168
	ds_read_b128 v[134:137], v85 offset:4752
	v_mul_u32_u24_e32 v71, 0x630, v87
	v_add_co_u32 v50, s0, s8, v50
	v_add3_u32 v162, 0, v69, v70
	v_add_co_ci_u32_e64 v51, s0, s9, v51, s0
	s_waitcnt vmcnt(11) lgkmcnt(15)
	v_mul_f64 v[69:70], v[55:56], v[14:15]
	v_mul_f64 v[14:15], v[53:54], v[14:15]
	s_waitcnt vmcnt(10) lgkmcnt(14)
	v_mul_f64 v[87:88], v[59:60], v[10:11]
	v_mul_f64 v[10:11], v[57:58], v[10:11]
	s_waitcnt vmcnt(9) lgkmcnt(13)
	v_mul_f64 v[138:139], v[63:64], v[2:3]
	v_mul_f64 v[2:3], v[61:62], v[2:3]
	s_waitcnt vmcnt(8) lgkmcnt(12)
	v_mul_f64 v[140:141], v[67:68], v[6:7]
	v_mul_f64 v[142:143], v[65:66], v[6:7]
	s_waitcnt vmcnt(7) lgkmcnt(11)
	v_mul_f64 v[144:145], v[92:93], v[18:19]
	v_mul_f64 v[18:19], v[90:91], v[18:19]
	s_waitcnt vmcnt(6) lgkmcnt(9)
	v_mul_f64 v[146:147], v[100:101], v[22:23]
	v_mul_f64 v[22:23], v[98:99], v[22:23]
	s_waitcnt vmcnt(5)
	v_mul_f64 v[148:149], v[96:97], v[30:31]
	v_mul_f64 v[30:31], v[94:95], v[30:31]
	s_waitcnt vmcnt(4) lgkmcnt(8)
	v_mul_f64 v[150:151], v[104:105], v[26:27]
	v_mul_f64 v[26:27], v[102:103], v[26:27]
	s_waitcnt vmcnt(3) lgkmcnt(7)
	v_mul_f64 v[152:153], v[108:109], v[38:39]
	v_mul_f64 v[38:39], v[106:107], v[38:39]
	s_waitcnt vmcnt(2) lgkmcnt(5)
	v_mul_f64 v[154:155], v[116:117], v[34:35]
	v_mul_f64 v[34:35], v[114:115], v[34:35]
	s_waitcnt vmcnt(1)
	v_mul_f64 v[156:157], v[112:113], v[46:47]
	v_mul_f64 v[46:47], v[110:111], v[46:47]
	s_waitcnt vmcnt(0) lgkmcnt(4)
	v_mul_f64 v[158:159], v[120:121], v[42:43]
	v_mul_f64 v[42:43], v[118:119], v[42:43]
	v_fma_f64 v[53:54], v[53:54], v[12:13], v[69:70]
	v_fma_f64 v[14:15], v[55:56], v[12:13], -v[14:15]
	v_fma_f64 v[55:56], v[57:58], v[8:9], v[87:88]
	v_fma_f64 v[57:58], v[59:60], v[8:9], -v[10:11]
	;; [unrolled: 2-line block ×10, first 2 shown]
	ds_read_b128 v[6:9], v85 offset:6336
	ds_read_b128 v[10:13], v85 offset:7920
	v_fma_f64 v[34:35], v[110:111], v[44:45], v[156:157]
	v_fma_f64 v[44:45], v[112:113], v[44:45], -v[46:47]
	v_fma_f64 v[46:47], v[118:119], v[40:41], v[158:159]
	v_fma_f64 v[40:41], v[120:121], v[40:41], -v[42:43]
	s_waitcnt lgkmcnt(5)
	v_add_f64 v[42:43], v[122:123], v[53:54]
	v_add_f64 v[63:64], v[53:54], v[55:56]
	v_add_f64 v[65:66], v[14:15], -v[57:58]
	v_add_f64 v[67:68], v[124:125], v[14:15]
	v_add_f64 v[14:15], v[14:15], v[57:58]
	;; [unrolled: 1-line block ×4, first 2 shown]
	s_waitcnt lgkmcnt(4)
	v_add_f64 v[69:70], v[126:127], v[59:60]
	v_add_f64 v[98:99], v[2:3], v[18:19]
	;; [unrolled: 1-line block ×3, first 2 shown]
	s_waitcnt lgkmcnt(2)
	v_add_f64 v[114:115], v[136:137], v[28:29]
	v_add_f64 v[110:111], v[22:23], v[30:31]
	v_add_f64 v[112:113], v[28:29], -v[24:25]
	v_add_f64 v[28:29], v[28:29], v[24:25]
	v_add_f64 v[92:93], v[128:129], v[0:1]
	;; [unrolled: 1-line block ×3, first 2 shown]
	v_add_f64 v[138:139], v[36:37], -v[32:33]
	s_waitcnt lgkmcnt(1)
	v_add_f64 v[140:141], v[8:9], v[36:37]
	v_add_f64 v[36:37], v[36:37], v[32:33]
	;; [unrolled: 1-line block ×3, first 2 shown]
	v_add_f64 v[142:143], v[26:27], -v[38:39]
	s_waitcnt lgkmcnt(0)
	v_add_f64 v[26:27], v[10:11], v[34:35]
	v_add_f64 v[144:145], v[34:35], v[46:47]
	v_add_f64 v[146:147], v[44:45], -v[40:41]
	v_add_f64 v[148:149], v[12:13], v[44:45]
	v_add_f64 v[44:45], v[44:45], v[40:41]
	v_add_f64 v[53:54], v[53:54], -v[55:56]
	v_add_f64 v[90:91], v[0:1], -v[4:5]
	;; [unrolled: 1-line block ×3, first 2 shown]
	v_add_f64 v[0:1], v[42:43], v[55:56]
	v_fma_f64 v[34:35], v[63:64], -0.5, v[122:123]
	v_fma_f64 v[42:43], v[14:15], -0.5, v[124:125]
	v_add_f64 v[108:109], v[134:135], v[22:23]
	v_add_f64 v[59:60], v[59:60], -v[61:62]
	v_add_f64 v[96:97], v[130:131], v[2:3]
	v_add_f64 v[106:107], v[2:3], -v[18:19]
	v_add_f64 v[2:3], v[67:68], v[57:58]
	v_fma_f64 v[55:56], v[87:88], -0.5, v[126:127]
	v_fma_f64 v[57:58], v[94:95], -0.5, v[128:129]
	v_add_f64 v[102:103], v[132:133], v[16:17]
	v_add_f64 v[100:101], v[16:17], -v[20:21]
	v_add_f64 v[14:15], v[69:70], v[61:62]
	v_fma_f64 v[61:62], v[98:99], -0.5, v[130:131]
	v_fma_f64 v[63:64], v[104:105], -0.5, v[132:133]
	v_add_f64 v[116:117], v[22:23], -v[30:31]
	v_fma_f64 v[67:68], v[110:111], -0.5, v[134:135]
	v_fma_f64 v[69:70], v[28:29], -0.5, v[136:137]
	v_add_f64 v[16:17], v[92:93], v[4:5]
	v_fma_f64 v[87:88], v[120:121], -0.5, v[6:7]
	v_fma_f64 v[92:93], v[36:37], -0.5, v[8:9]
	v_add_f64 v[8:9], v[26:27], v[46:47]
	v_fma_f64 v[46:47], v[144:145], -0.5, v[10:11]
	v_fma_f64 v[12:13], v[44:45], -0.5, v[12:13]
	v_fma_f64 v[26:27], v[65:66], s[4:5], v[34:35]
	v_fma_f64 v[28:29], v[53:54], s[6:7], v[42:43]
	v_add_f64 v[22:23], v[108:109], v[30:31]
	v_add_f64 v[6:7], v[140:141], v[32:33]
	v_fma_f64 v[30:31], v[65:66], s[6:7], v[34:35]
	v_fma_f64 v[32:33], v[53:54], s[4:5], v[42:43]
	;; [unrolled: 1-line block ×4, first 2 shown]
	v_add_f64 v[4:5], v[118:119], v[38:39]
	v_add_f64 v[10:11], v[148:149], v[40:41]
	v_fma_f64 v[38:39], v[90:91], s[6:7], v[55:56]
	v_fma_f64 v[40:41], v[59:60], s[4:5], v[57:58]
	v_add_f64 v[18:19], v[96:97], v[18:19]
	v_add_f64 v[20:21], v[102:103], v[20:21]
	v_fma_f64 v[42:43], v[100:101], s[4:5], v[61:62]
	v_fma_f64 v[44:45], v[106:107], s[6:7], v[63:64]
	;; [unrolled: 1-line block ×4, first 2 shown]
	v_add_f64 v[24:25], v[114:115], v[24:25]
	v_fma_f64 v[57:58], v[112:113], s[4:5], v[67:68]
	v_fma_f64 v[59:60], v[116:117], s[6:7], v[69:70]
	;; [unrolled: 1-line block ×12, first 2 shown]
	v_add3_u32 v12, 0, v71, v73
	s_barrier
	buffer_gl0_inv
	ds_write_b128 v48, v[0:3]
	ds_write_b128 v48, v[26:29] offset:528
	ds_write_b128 v48, v[30:33] offset:1056
	ds_write_b128 v84, v[14:17]
	ds_write_b128 v84, v[34:37] offset:528
	ds_write_b128 v84, v[38:41] offset:1056
	;; [unrolled: 3-line block ×6, first 2 shown]
	s_waitcnt lgkmcnt(0)
	s_barrier
	buffer_gl0_inv
	s_clause 0x1
	global_load_dwordx4 v[0:3], v[50:51], off offset:1408
	global_load_dwordx4 v[4:7], v[50:51], off offset:1424
	v_and_b32_e32 v41, 0xffff, v77
	v_sub_nc_u16 v12, v82, v75
	v_lshlrev_b32_e32 v13, 5, v52
	v_and_b32_e32 v42, 0xffff, v81
	v_lshlrev_b32_e32 v48, 1, v80
	v_lshlrev_b32_e32 v14, 5, v41
	v_and_b32_e32 v40, 0xffff, v12
	s_clause 0x1
	global_load_dwordx4 v[8:11], v13, s[8:9] offset:1408
	global_load_dwordx4 v[16:19], v13, s[8:9] offset:1424
	v_lshlrev_b32_e32 v24, 5, v42
	s_clause 0x1
	global_load_dwordx4 v[20:23], v14, s[8:9] offset:1408
	global_load_dwordx4 v[12:15], v14, s[8:9] offset:1424
	v_lshlrev_b32_e32 v32, 5, v40
	s_clause 0x3
	global_load_dwordx4 v[28:31], v24, s[8:9] offset:1408
	global_load_dwordx4 v[24:27], v24, s[8:9] offset:1424
	;; [unrolled: 1-line block ×4, first 2 shown]
	v_lshlrev_b64 v[43:44], 4, v[48:49]
	v_add_co_u32 v70, s0, 0x11e0, v50
	v_add_co_ci_u32_e64 v71, s0, 0, v51, s0
	v_lshlrev_b32_e32 v48, 1, v72
	v_add_co_u32 v43, s0, s8, v43
	v_add_co_ci_u32_e64 v44, s0, s9, v44, s0
	v_add_co_u32 v87, s0, 0x1000, v50
	v_add_co_ci_u32_e64 v88, s0, 0, v51, s0
	v_lshlrev_b64 v[45:46], 4, v[48:49]
	v_add_co_u32 v138, s0, 0x11e0, v43
	v_add_co_ci_u32_e64 v139, s0, 0, v44, s0
	v_add_co_u32 v140, s0, 0x1000, v43
	v_add_co_ci_u32_e64 v141, s0, 0, v44, s0
	v_add_co_u32 v73, s0, s8, v45
	v_add_co_ci_u32_e64 v75, s0, s9, v46, s0
	ds_read_b128 v[43:46], v85 offset:9504
	v_lshl_add_u32 v77, v52, 4, 0
	ds_read_b128 v[50:53], v89 offset:11088
	v_lshl_add_u32 v81, v41, 4, 0
	v_lshl_add_u32 v84, v42, 4, 0
	ds_read_b128 v[54:57], v89 offset:19008
	ds_read_b128 v[58:61], v89 offset:20592
	;; [unrolled: 1-line block ×10, first 2 shown]
	ds_read_b128 v[114:117], v89
	ds_read_b128 v[118:121], v86
	ds_read_b128 v[122:125], v85 offset:3168
	ds_read_b128 v[126:129], v85 offset:4752
	;; [unrolled: 1-line block ×4, first 2 shown]
	v_lshl_add_u32 v40, v40, 4, 0
	s_waitcnt vmcnt(0) lgkmcnt(0)
	s_barrier
	buffer_gl0_inv
	v_mul_f64 v[41:42], v[45:46], v[2:3]
	v_mul_f64 v[47:48], v[43:44], v[2:3]
	;; [unrolled: 1-line block ×22, first 2 shown]
	v_fma_f64 v[41:42], v[43:44], v[0:1], v[41:42]
	v_fma_f64 v[43:44], v[45:46], v[0:1], -v[47:48]
	v_mul_f64 v[45:46], v[112:113], v[34:35]
	v_mul_f64 v[34:35], v[110:111], v[34:35]
	v_fma_f64 v[47:48], v[50:51], v[0:1], v[142:143]
	v_fma_f64 v[50:51], v[54:55], v[4:5], v[144:145]
	v_fma_f64 v[54:55], v[56:57], v[4:5], -v[146:147]
	v_fma_f64 v[0:1], v[52:53], v[0:1], -v[2:3]
	v_fma_f64 v[52:53], v[58:59], v[4:5], v[148:149]
	v_fma_f64 v[6:7], v[60:61], v[4:5], -v[6:7]
	v_fma_f64 v[2:3], v[62:63], v[8:9], v[150:151]
	;; [unrolled: 2-line block ×9, first 2 shown]
	v_fma_f64 v[32:33], v[112:113], v[32:33], -v[34:35]
	v_add_f64 v[34:35], v[114:115], v[41:42]
	v_add_f64 v[38:39], v[41:42], v[50:51]
	v_add_f64 v[45:46], v[43:44], -v[54:55]
	v_add_f64 v[56:57], v[116:117], v[43:44]
	v_add_f64 v[43:44], v[43:44], v[54:55]
	;; [unrolled: 1-line block ×10, first 2 shown]
	v_add_f64 v[104:105], v[18:19], -v[14:15]
	v_add_f64 v[18:19], v[18:19], v[14:15]
	v_add_f64 v[142:143], v[132:133], v[22:23]
	v_add_f64 v[110:111], v[12:13], v[28:29]
	v_add_f64 v[112:113], v[22:23], -v[24:25]
	v_add_f64 v[22:23], v[22:23], v[24:25]
	v_add_f64 v[68:69], v[122:123], v[2:3]
	;; [unrolled: 1-line block ×4, first 2 shown]
	v_add_f64 v[150:151], v[30:31], -v[32:33]
	v_add_f64 v[152:153], v[136:137], v[30:31]
	v_add_f64 v[30:31], v[30:31], v[32:33]
	;; [unrolled: 1-line block ×3, first 2 shown]
	v_add_f64 v[108:109], v[16:17], -v[20:21]
	v_add_f64 v[16:17], v[130:131], v[12:13]
	v_add_f64 v[146:147], v[134:135], v[26:27]
	v_add_f64 v[41:42], v[41:42], -v[50:51]
	v_add_f64 v[62:63], v[0:1], -v[6:7]
	;; [unrolled: 1-line block ×3, first 2 shown]
	v_add_f64 v[0:1], v[34:35], v[50:51]
	v_fma_f64 v[26:27], v[38:39], -0.5, v[114:115]
	v_fma_f64 v[34:35], v[43:44], -0.5, v[116:117]
	v_add_f64 v[47:48], v[47:48], -v[52:53]
	v_fma_f64 v[38:39], v[60:61], -0.5, v[118:119]
	v_fma_f64 v[43:44], v[66:67], -0.5, v[120:121]
	v_add_f64 v[92:93], v[4:5], -v[10:11]
	v_add_f64 v[98:99], v[2:3], -v[8:9]
	v_add_f64 v[4:5], v[58:59], v[52:53]
	v_fma_f64 v[50:51], v[90:91], -0.5, v[122:123]
	v_fma_f64 v[52:53], v[96:97], -0.5, v[124:125]
	v_add_f64 v[2:3], v[56:57], v[54:55]
	v_fma_f64 v[54:55], v[102:103], -0.5, v[126:127]
	v_fma_f64 v[56:57], v[18:19], -0.5, v[128:129]
	v_add_f64 v[144:145], v[12:13], -v[28:29]
	v_add_f64 v[6:7], v[64:65], v[6:7]
	v_fma_f64 v[60:61], v[110:111], -0.5, v[130:131]
	v_fma_f64 v[64:65], v[22:23], -0.5, v[132:133]
	v_add_f64 v[8:9], v[68:69], v[8:9]
	v_add_f64 v[10:11], v[94:95], v[10:11]
	v_fma_f64 v[68:69], v[148:149], -0.5, v[134:135]
	v_fma_f64 v[94:95], v[30:31], -0.5, v[136:137]
	v_add_f64 v[12:13], v[100:101], v[20:21]
	v_add_f64 v[14:15], v[106:107], v[14:15]
	;; [unrolled: 1-line block ×6, first 2 shown]
	v_fma_f64 v[24:25], v[45:46], s[4:5], v[26:27]
	v_fma_f64 v[28:29], v[45:46], s[6:7], v[26:27]
	;; [unrolled: 1-line block ×24, first 2 shown]
	ds_write_b128 v89, v[0:3]
	ds_write_b128 v89, v[4:7] offset:4752
	ds_write_b128 v77, v[8:11] offset:9504
	ds_write_b128 v81, v[12:15] offset:14256
	ds_write_b128 v84, v[16:19] offset:19008
	ds_write_b128 v40, v[20:23] offset:23760
	ds_write_b128 v89, v[24:27] offset:1584
	ds_write_b128 v89, v[28:31] offset:3168
	ds_write_b128 v89, v[32:35] offset:6336
	ds_write_b128 v89, v[36:39] offset:7920
	ds_write_b128 v77, v[41:44] offset:11088
	ds_write_b128 v77, v[45:48] offset:12672
	ds_write_b128 v81, v[50:53] offset:15840
	ds_write_b128 v81, v[54:57] offset:17424
	ds_write_b128 v84, v[58:61] offset:20592
	ds_write_b128 v84, v[62:65] offset:22176
	ds_write_b128 v40, v[66:69] offset:25344
	ds_write_b128 v40, v[90:93] offset:26928
	v_add_co_u32 v12, s0, 0x1000, v73
	v_add_co_ci_u32_e64 v13, s0, 0, v75, s0
	s_waitcnt lgkmcnt(0)
	s_barrier
	buffer_gl0_inv
	global_load_dwordx4 v[16:19], v[87:88], off offset:480
	v_add_co_u32 v20, s0, 0x11e0, v73
	s_clause 0x1
	global_load_dwordx4 v[4:7], v[70:71], off offset:16
	global_load_dwordx4 v[0:3], v[140:141], off offset:480
	v_add_co_ci_u32_e64 v21, s0, 0, v75, s0
	s_clause 0x2
	global_load_dwordx4 v[8:11], v[138:139], off offset:16
	global_load_dwordx4 v[12:15], v[12:13], off offset:480
	;; [unrolled: 1-line block ×3, first 2 shown]
	v_mov_b32_e32 v77, v49
	v_mov_b32_e32 v81, v49
	v_lshlrev_b64 v[24:25], 4, v[76:77]
	v_lshlrev_b64 v[26:27], 4, v[80:81]
	v_add_co_u32 v30, s0, s8, v24
	v_add_co_ci_u32_e64 v31, s0, s9, v25, s0
	v_add_co_u32 v32, s0, s8, v26
	v_add_co_ci_u32_e64 v33, s0, s9, v27, s0
	;; [unrolled: 2-line block ×4, first 2 shown]
	ds_read_b128 v[32:35], v85 offset:9504
	ds_read_b128 v[36:39], v89 offset:14256
	;; [unrolled: 1-line block ×8, first 2 shown]
	ds_read_b128 v[64:67], v89
	ds_read_b128 v[68:71], v86
	ds_read_b128 v[90:93], v89 offset:15840
	ds_read_b128 v[94:97], v89 offset:17424
	;; [unrolled: 1-line block ×8, first 2 shown]
	v_add_co_u32 v87, s0, 0x4000, v30
	v_add_co_ci_u32_e64 v88, s0, 0, v31, s0
	v_add_co_u32 v122, s0, 0x4800, v30
	v_add_co_ci_u32_e64 v123, s0, 0, v31, s0
	;; [unrolled: 2-line block ×3, first 2 shown]
	s_waitcnt vmcnt(0) lgkmcnt(0)
	s_barrier
	buffer_gl0_inv
	v_mul_f64 v[126:127], v[34:35], v[18:19]
	v_mul_f64 v[128:129], v[32:33], v[18:19]
	;; [unrolled: 1-line block ×24, first 2 shown]
	v_fma_f64 v[32:33], v[32:33], v[16:17], v[126:127]
	v_fma_f64 v[34:35], v[34:35], v[16:17], -v[128:129]
	v_fma_f64 v[40:41], v[40:41], v[4:5], v[132:133]
	v_fma_f64 v[42:43], v[42:43], v[4:5], -v[134:135]
	;; [unrolled: 2-line block ×12, first 2 shown]
	v_add_f64 v[8:9], v[64:65], v[32:33]
	v_add_f64 v[10:11], v[32:33], v[40:41]
	v_add_f64 v[12:13], v[66:67], v[34:35]
	v_add_f64 v[14:15], v[34:35], v[42:43]
	v_add_f64 v[92:93], v[34:35], -v[42:43]
	v_add_f64 v[94:95], v[32:33], -v[40:41]
	v_add_f64 v[20:21], v[68:69], v[18:19]
	v_add_f64 v[32:33], v[18:19], v[44:45]
	v_add_f64 v[96:97], v[38:39], -v[46:47]
	v_add_f64 v[34:35], v[70:71], v[38:39]
	v_add_f64 v[38:39], v[38:39], v[46:47]
	;; [unrolled: 3-line block ×4, first 2 shown]
	v_add_f64 v[128:129], v[36:37], v[56:57]
	v_add_f64 v[130:131], v[16:17], -v[58:59]
	v_add_f64 v[132:133], v[112:113], v[16:17]
	v_add_f64 v[16:17], v[16:17], v[58:59]
	;; [unrolled: 1-line block ×6, first 2 shown]
	v_add_f64 v[138:139], v[0:1], -v[62:63]
	v_add_f64 v[140:141], v[116:117], v[0:1]
	v_add_f64 v[146:147], v[118:119], v[2:3]
	v_add_f64 v[156:157], v[2:3], -v[90:91]
	v_add_f64 v[0:1], v[8:9], v[40:41]
	v_add_f64 v[2:3], v[12:13], v[42:43]
	v_fma_f64 v[40:41], v[10:11], -0.5, v[64:65]
	v_fma_f64 v[42:43], v[14:15], -0.5, v[66:67]
	v_add_f64 v[126:127], v[48:49], -v[52:53]
	v_add_f64 v[48:49], v[110:111], v[36:37]
	v_add_f64 v[134:135], v[36:37], -v[56:57]
	v_add_f64 v[36:37], v[114:115], v[4:5]
	;; [unrolled: 2-line block ×4, first 2 shown]
	v_fma_f64 v[44:45], v[32:33], -0.5, v[68:69]
	v_add_f64 v[6:7], v[34:35], v[46:47]
	v_fma_f64 v[46:47], v[38:39], -0.5, v[70:71]
	v_add_f64 v[8:9], v[18:19], v[52:53]
	;; [unrolled: 2-line block ×3, first 2 shown]
	v_fma_f64 v[54:55], v[50:51], -0.5, v[108:109]
	v_fma_f64 v[64:65], v[128:129], -0.5, v[110:111]
	;; [unrolled: 1-line block ×7, first 2 shown]
	v_fma_f64 v[32:33], v[92:93], s[4:5], v[40:41]
	v_fma_f64 v[34:35], v[94:95], s[6:7], v[42:43]
	;; [unrolled: 1-line block ×3, first 2 shown]
	v_add_f64 v[12:13], v[48:49], v[56:57]
	v_add_f64 v[16:17], v[36:37], v[60:61]
	v_fma_f64 v[36:37], v[92:93], s[6:7], v[40:41]
	v_add_f64 v[14:15], v[132:133], v[58:59]
	v_add_f64 v[18:19], v[140:141], v[62:63]
	;; [unrolled: 1-line block ×3, first 2 shown]
	v_fma_f64 v[40:41], v[96:97], s[4:5], v[44:45]
	v_fma_f64 v[44:45], v[96:97], s[6:7], v[44:45]
	;; [unrolled: 1-line block ×16, first 2 shown]
	v_add_f64 v[22:23], v[150:151], v[22:23]
	v_fma_f64 v[90:91], v[154:155], s[4:5], v[100:101]
	v_fma_f64 v[92:93], v[156:157], s[6:7], v[104:105]
	;; [unrolled: 1-line block ×4, first 2 shown]
	ds_write_b128 v89, v[0:3]
	ds_write_b128 v89, v[32:35] offset:4752
	ds_write_b128 v89, v[36:39] offset:9504
	ds_write_b128 v86, v[4:7]
	ds_write_b128 v86, v[40:43] offset:4752
	ds_write_b128 v86, v[44:47] offset:9504
	;; [unrolled: 1-line block ×14, first 2 shown]
	s_waitcnt lgkmcnt(0)
	s_barrier
	buffer_gl0_inv
	s_clause 0x1
	global_load_dwordx4 v[0:3], v[28:29], off offset:1792
	global_load_dwordx4 v[4:7], v[80:81], off offset:1792
	v_add_co_u32 v98, s0, 0x5800, v30
	v_add_co_ci_u32_e64 v99, s0, 0, v31, s0
	v_add_co_u32 v32, s0, 0x6000, v30
	s_clause 0x3
	global_load_dwordx4 v[8:11], v[87:88], off offset:864
	global_load_dwordx4 v[12:15], v[122:123], off offset:400
	;; [unrolled: 1-line block ×4, first 2 shown]
	v_add_co_ci_u32_e64 v33, s0, 0, v31, s0
	v_add_co_u32 v36, s0, 0x6800, v30
	v_add_co_ci_u32_e64 v37, s0, 0, v31, s0
	s_clause 0x2
	global_load_dwordx4 v[28:31], v[98:99], off offset:1056
	global_load_dwordx4 v[32:35], v[32:33], off offset:592
	;; [unrolled: 1-line block ×3, first 2 shown]
	ds_read_b128 v[40:43], v89 offset:14256
	ds_read_b128 v[44:47], v89 offset:15840
	;; [unrolled: 1-line block ×14, first 2 shown]
	ds_read_b128 v[114:117], v86
	ds_read_b128 v[118:121], v85 offset:9504
	ds_read_b128 v[122:125], v89
	ds_read_b128 v[126:129], v89 offset:11088
	s_waitcnt vmcnt(0) lgkmcnt(0)
	s_barrier
	buffer_gl0_inv
	s_addc_u32 s4, s9, 0
	s_mov_b32 s5, exec_lo
	v_mul_f64 v[80:81], v[42:43], v[2:3]
	v_mul_f64 v[2:3], v[40:41], v[2:3]
	v_mul_f64 v[87:88], v[46:47], v[6:7]
	v_mul_f64 v[6:7], v[44:45], v[6:7]
	v_mul_f64 v[130:131], v[50:51], v[10:11]
	v_mul_f64 v[10:11], v[48:49], v[10:11]
	v_mul_f64 v[132:133], v[54:55], v[14:15]
	v_mul_f64 v[14:15], v[52:53], v[14:15]
	v_mul_f64 v[134:135], v[58:59], v[18:19]
	v_mul_f64 v[18:19], v[56:57], v[18:19]
	v_mul_f64 v[136:137], v[62:63], v[22:23]
	v_mul_f64 v[22:23], v[60:61], v[22:23]
	v_mul_f64 v[138:139], v[66:67], v[30:31]
	v_mul_f64 v[30:31], v[64:65], v[30:31]
	v_mul_f64 v[140:141], v[70:71], v[34:35]
	v_mul_f64 v[34:35], v[68:69], v[34:35]
	v_mul_f64 v[142:143], v[92:93], v[38:39]
	v_mul_f64 v[38:39], v[90:91], v[38:39]
	v_fma_f64 v[40:41], v[40:41], v[0:1], v[80:81]
	v_fma_f64 v[2:3], v[42:43], v[0:1], -v[2:3]
	v_fma_f64 v[42:43], v[44:45], v[4:5], v[87:88]
	v_fma_f64 v[6:7], v[46:47], v[4:5], -v[6:7]
	;; [unrolled: 2-line block ×9, first 2 shown]
	v_add_f64 v[0:1], v[122:123], -v[40:41]
	v_add_f64 v[2:3], v[124:125], -v[2:3]
	;; [unrolled: 1-line block ×18, first 2 shown]
	v_fma_f64 v[40:41], v[122:123], 2.0, -v[0:1]
	v_fma_f64 v[42:43], v[124:125], 2.0, -v[2:3]
	;; [unrolled: 1-line block ×18, first 2 shown]
	ds_write_b128 v89, v[0:3] offset:14256
	ds_write_b128 v89, v[40:43]
	ds_write_b128 v86, v[44:47]
	ds_write_b128 v86, v[4:7] offset:14256
	ds_write_b128 v85, v[48:51] offset:3168
	;; [unrolled: 1-line block ×15, first 2 shown]
	s_waitcnt lgkmcnt(0)
	s_barrier
	buffer_gl0_inv
	ds_read_b128 v[4:7], v89
	v_lshlrev_b32_e32 v0, 4, v76
                                        ; implicit-def: $vgpr8_vgpr9
                                        ; implicit-def: $vgpr10_vgpr11
	v_sub_nc_u32_e32 v12, 0, v0
                                        ; implicit-def: $vgpr0_vgpr1
	v_cmpx_ne_u32_e32 0, v76
	s_xor_b32 s5, exec_lo, s5
	s_cbranch_execz .LBB0_17
; %bb.16:
	v_add_co_u32 v0, s0, s1, v24
	v_add_co_ci_u32_e64 v1, s0, s4, v25, s0
	global_load_dwordx4 v[13:16], v[0:1], off
	ds_read_b128 v[0:3], v12 offset:28512
	s_waitcnt lgkmcnt(0)
	v_add_f64 v[8:9], v[4:5], -v[0:1]
	v_add_f64 v[10:11], v[6:7], v[2:3]
	v_add_f64 v[2:3], v[6:7], -v[2:3]
	v_add_f64 v[0:1], v[4:5], v[0:1]
	v_mul_f64 v[6:7], v[8:9], 0.5
	v_mul_f64 v[4:5], v[10:11], 0.5
	;; [unrolled: 1-line block ×3, first 2 shown]
	s_waitcnt vmcnt(0)
	v_mul_f64 v[8:9], v[6:7], v[15:16]
	v_fma_f64 v[10:11], v[4:5], v[15:16], v[2:3]
	v_fma_f64 v[2:3], v[4:5], v[15:16], -v[2:3]
	v_fma_f64 v[17:18], v[0:1], 0.5, v[8:9]
	v_fma_f64 v[0:1], v[0:1], 0.5, -v[8:9]
	v_fma_f64 v[10:11], -v[13:14], v[6:7], v[10:11]
	v_fma_f64 v[2:3], -v[13:14], v[6:7], v[2:3]
	v_fma_f64 v[8:9], v[4:5], v[13:14], v[17:18]
	v_fma_f64 v[0:1], -v[4:5], v[13:14], v[0:1]
                                        ; implicit-def: $vgpr4_vgpr5
.LBB0_17:
	s_andn2_saveexec_b32 s0, s5
	s_cbranch_execz .LBB0_19
; %bb.18:
	v_mov_b32_e32 v15, 0
	s_waitcnt lgkmcnt(0)
	v_add_f64 v[8:9], v[4:5], v[6:7]
	v_add_f64 v[0:1], v[4:5], -v[6:7]
	v_mov_b32_e32 v10, 0
	v_mov_b32_e32 v11, 0
	ds_read_b64 v[13:14], v15 offset:14264
	v_mov_b32_e32 v2, v10
	v_mov_b32_e32 v3, v11
	s_waitcnt lgkmcnt(0)
	v_xor_b32_e32 v14, 0x80000000, v14
	ds_write_b64 v15, v[13:14] offset:14264
.LBB0_19:
	s_or_b32 exec_lo, exec_lo, s0
	s_waitcnt lgkmcnt(0)
	v_add_co_u32 v4, s0, s1, v26
	v_add_co_ci_u32_e64 v5, s0, s4, v27, s0
	v_mov_b32_e32 v73, 0
	ds_write2_b64 v89, v[8:9], v[10:11] offset1:1
	ds_write_b128 v12, v[0:3] offset:28512
	global_load_dwordx4 v[4:7], v[4:5], off
	v_lshlrev_b64 v[13:14], 4, v[72:73]
	v_mov_b32_e32 v84, v73
	v_mov_b32_e32 v75, v73
	v_add_nc_u32_e32 v72, 0x318, v76
	v_add_co_u32 v13, s0, s1, v13
	v_add_co_ci_u32_e64 v14, s0, s4, v14, s0
	v_lshlrev_b64 v[17:18], 4, v[83:84]
	v_mov_b32_e32 v83, v73
	global_load_dwordx4 v[13:16], v[13:14], off
	ds_read_b128 v[0:3], v86
	ds_read_b128 v[8:11], v12 offset:26928
	v_add_co_u32 v17, s0, s1, v17
	v_add_co_ci_u32_e64 v18, s0, s4, v18, s0
	global_load_dwordx4 v[17:20], v[17:18], off
	s_waitcnt lgkmcnt(0)
	v_add_f64 v[21:22], v[0:1], -v[8:9]
	v_add_f64 v[26:27], v[2:3], v[10:11]
	v_add_f64 v[2:3], v[2:3], -v[10:11]
	v_add_f64 v[0:1], v[0:1], v[8:9]
	v_mul_f64 v[10:11], v[21:22], 0.5
	v_mul_f64 v[21:22], v[26:27], 0.5
	;; [unrolled: 1-line block ×3, first 2 shown]
	s_waitcnt vmcnt(2)
	v_mul_f64 v[8:9], v[10:11], v[6:7]
	v_fma_f64 v[26:27], v[21:22], v[6:7], v[2:3]
	v_fma_f64 v[2:3], v[21:22], v[6:7], -v[2:3]
	v_fma_f64 v[6:7], v[0:1], 0.5, v[8:9]
	v_fma_f64 v[0:1], v[0:1], 0.5, -v[8:9]
	v_fma_f64 v[8:9], -v[4:5], v[10:11], v[26:27]
	v_fma_f64 v[2:3], -v[4:5], v[10:11], v[2:3]
	v_lshlrev_b64 v[10:11], 4, v[74:75]
	v_fma_f64 v[6:7], v[21:22], v[4:5], v[6:7]
	v_fma_f64 v[0:1], -v[21:22], v[4:5], v[0:1]
	ds_write2_b64 v86, v[6:7], v[8:9] offset1:1
	ds_write_b128 v12, v[0:3] offset:26928
	v_add_co_u32 v8, s0, s1, v10
	v_add_co_ci_u32_e64 v9, s0, s4, v11, s0
	ds_read_b128 v[0:3], v85 offset:3168
	ds_read_b128 v[4:7], v12 offset:25344
	global_load_dwordx4 v[8:11], v[8:9], off
	s_waitcnt lgkmcnt(0)
	v_add_f64 v[21:22], v[0:1], -v[4:5]
	v_add_f64 v[26:27], v[2:3], v[6:7]
	v_add_f64 v[2:3], v[2:3], -v[6:7]
	v_add_f64 v[0:1], v[0:1], v[4:5]
	v_mul_f64 v[6:7], v[21:22], 0.5
	v_mul_f64 v[21:22], v[26:27], 0.5
	;; [unrolled: 1-line block ×3, first 2 shown]
	s_waitcnt vmcnt(2)
	v_mul_f64 v[4:5], v[6:7], v[15:16]
	v_fma_f64 v[26:27], v[21:22], v[15:16], v[2:3]
	v_fma_f64 v[2:3], v[21:22], v[15:16], -v[2:3]
	v_fma_f64 v[15:16], v[0:1], 0.5, v[4:5]
	v_fma_f64 v[0:1], v[0:1], 0.5, -v[4:5]
	v_fma_f64 v[4:5], -v[13:14], v[6:7], v[26:27]
	v_fma_f64 v[2:3], -v[13:14], v[6:7], v[2:3]
	v_fma_f64 v[6:7], v[21:22], v[13:14], v[15:16]
	v_fma_f64 v[0:1], -v[21:22], v[13:14], v[0:1]
	v_lshlrev_b64 v[13:14], 4, v[82:83]
	ds_write_b64 v85, v[4:5] offset:3176
	ds_write_b64 v12, v[2:3] offset:25352
	;; [unrolled: 1-line block ×4, first 2 shown]
	v_add_co_u32 v13, s0, s1, v13
	v_add_co_ci_u32_e64 v14, s0, s4, v14, s0
	ds_read_b128 v[0:3], v85 offset:4752
	ds_read_b128 v[4:7], v12 offset:23760
	global_load_dwordx4 v[13:16], v[13:14], off
	s_waitcnt lgkmcnt(0)
	v_add_f64 v[21:22], v[0:1], -v[4:5]
	v_add_f64 v[26:27], v[2:3], v[6:7]
	v_add_f64 v[2:3], v[2:3], -v[6:7]
	v_add_f64 v[0:1], v[0:1], v[4:5]
	v_mul_f64 v[6:7], v[21:22], 0.5
	v_mul_f64 v[21:22], v[26:27], 0.5
	;; [unrolled: 1-line block ×3, first 2 shown]
	s_waitcnt vmcnt(2)
	v_mul_f64 v[4:5], v[6:7], v[19:20]
	v_fma_f64 v[26:27], v[21:22], v[19:20], v[2:3]
	v_fma_f64 v[2:3], v[21:22], v[19:20], -v[2:3]
	v_fma_f64 v[19:20], v[0:1], 0.5, v[4:5]
	v_fma_f64 v[0:1], v[0:1], 0.5, -v[4:5]
	v_fma_f64 v[4:5], -v[17:18], v[6:7], v[26:27]
	v_fma_f64 v[2:3], -v[17:18], v[6:7], v[2:3]
	v_fma_f64 v[6:7], v[21:22], v[17:18], v[19:20]
	v_fma_f64 v[0:1], -v[21:22], v[17:18], v[0:1]
	v_add_nc_u32_e32 v17, 0x252, v76
	v_mov_b32_e32 v18, v73
	ds_write_b64 v85, v[4:5] offset:4760
	ds_write_b64 v12, v[2:3] offset:23768
	;; [unrolled: 1-line block ×4, first 2 shown]
	v_lshlrev_b64 v[17:18], 4, v[17:18]
	ds_read_b128 v[0:3], v85 offset:6336
	ds_read_b128 v[4:7], v12 offset:22176
	v_add_co_u32 v17, s0, s1, v17
	v_add_co_ci_u32_e64 v18, s0, s4, v18, s0
	global_load_dwordx4 v[17:20], v[17:18], off
	s_waitcnt lgkmcnt(0)
	v_add_f64 v[21:22], v[0:1], -v[4:5]
	v_add_f64 v[26:27], v[2:3], v[6:7]
	v_add_f64 v[2:3], v[2:3], -v[6:7]
	v_add_f64 v[0:1], v[0:1], v[4:5]
	v_mul_f64 v[6:7], v[21:22], 0.5
	v_mul_f64 v[21:22], v[26:27], 0.5
	;; [unrolled: 1-line block ×3, first 2 shown]
	s_waitcnt vmcnt(2)
	v_mul_f64 v[4:5], v[6:7], v[10:11]
	v_fma_f64 v[26:27], v[21:22], v[10:11], v[2:3]
	v_fma_f64 v[2:3], v[21:22], v[10:11], -v[2:3]
	v_fma_f64 v[10:11], v[0:1], 0.5, v[4:5]
	v_fma_f64 v[0:1], v[0:1], 0.5, -v[4:5]
	v_fma_f64 v[4:5], -v[8:9], v[6:7], v[26:27]
	v_fma_f64 v[2:3], -v[8:9], v[6:7], v[2:3]
	v_fma_f64 v[6:7], v[21:22], v[8:9], v[10:11]
	v_fma_f64 v[0:1], -v[21:22], v[8:9], v[0:1]
	v_add_nc_u32_e32 v8, 0x2b5, v76
	v_mov_b32_e32 v9, v73
	ds_write_b64 v85, v[4:5] offset:6344
	ds_write_b64 v12, v[2:3] offset:22184
	;; [unrolled: 1-line block ×4, first 2 shown]
	v_lshlrev_b64 v[8:9], 4, v[8:9]
	ds_read_b128 v[0:3], v85 offset:7920
	ds_read_b128 v[4:7], v12 offset:20592
	v_add_co_u32 v8, s0, s1, v8
	v_add_co_ci_u32_e64 v9, s0, s4, v9, s0
	global_load_dwordx4 v[8:11], v[8:9], off
	s_waitcnt lgkmcnt(0)
	v_add_f64 v[21:22], v[0:1], -v[4:5]
	v_add_f64 v[26:27], v[2:3], v[6:7]
	v_add_f64 v[2:3], v[2:3], -v[6:7]
	v_add_f64 v[0:1], v[0:1], v[4:5]
	v_mul_f64 v[6:7], v[21:22], 0.5
	v_mul_f64 v[21:22], v[26:27], 0.5
	;; [unrolled: 1-line block ×3, first 2 shown]
	s_waitcnt vmcnt(2)
	v_mul_f64 v[4:5], v[6:7], v[15:16]
	v_fma_f64 v[26:27], v[21:22], v[15:16], v[2:3]
	v_fma_f64 v[2:3], v[21:22], v[15:16], -v[2:3]
	v_fma_f64 v[15:16], v[0:1], 0.5, v[4:5]
	v_fma_f64 v[0:1], v[0:1], 0.5, -v[4:5]
	v_fma_f64 v[4:5], -v[13:14], v[6:7], v[26:27]
	v_fma_f64 v[2:3], -v[13:14], v[6:7], v[2:3]
	v_fma_f64 v[6:7], v[21:22], v[13:14], v[15:16]
	v_fma_f64 v[0:1], -v[21:22], v[13:14], v[0:1]
	v_lshlrev_b64 v[13:14], 4, v[72:73]
	ds_write_b64 v85, v[4:5] offset:7928
	ds_write_b64 v12, v[2:3] offset:20600
	;; [unrolled: 1-line block ×4, first 2 shown]
	v_add_co_u32 v13, s0, s1, v13
	v_add_co_ci_u32_e64 v14, s0, s4, v14, s0
	ds_read_b128 v[0:3], v85 offset:9504
	ds_read_b128 v[4:7], v12 offset:19008
	global_load_dwordx4 v[13:16], v[13:14], off
	s_waitcnt lgkmcnt(0)
	v_add_f64 v[21:22], v[0:1], -v[4:5]
	v_add_f64 v[26:27], v[2:3], v[6:7]
	v_add_f64 v[2:3], v[2:3], -v[6:7]
	v_add_f64 v[0:1], v[0:1], v[4:5]
	v_mul_f64 v[6:7], v[21:22], 0.5
	v_mul_f64 v[21:22], v[26:27], 0.5
	v_mul_f64 v[2:3], v[2:3], 0.5
	s_waitcnt vmcnt(2)
	v_mul_f64 v[4:5], v[6:7], v[19:20]
	v_fma_f64 v[26:27], v[21:22], v[19:20], v[2:3]
	v_fma_f64 v[2:3], v[21:22], v[19:20], -v[2:3]
	v_fma_f64 v[19:20], v[0:1], 0.5, v[4:5]
	v_fma_f64 v[0:1], v[0:1], 0.5, -v[4:5]
	v_fma_f64 v[4:5], -v[17:18], v[6:7], v[26:27]
	v_fma_f64 v[2:3], -v[17:18], v[6:7], v[2:3]
	v_fma_f64 v[6:7], v[21:22], v[17:18], v[19:20]
	v_fma_f64 v[0:1], -v[21:22], v[17:18], v[0:1]
	ds_write_b64 v85, v[4:5] offset:9512
	ds_write_b64 v12, v[2:3] offset:19016
	;; [unrolled: 1-line block ×4, first 2 shown]
	ds_read_b128 v[0:3], v89 offset:11088
	ds_read_b128 v[4:7], v12 offset:17424
	s_waitcnt lgkmcnt(0)
	v_add_f64 v[17:18], v[0:1], -v[4:5]
	v_add_f64 v[19:20], v[2:3], v[6:7]
	v_add_f64 v[2:3], v[2:3], -v[6:7]
	v_add_f64 v[0:1], v[0:1], v[4:5]
	v_mul_f64 v[6:7], v[17:18], 0.5
	v_mul_f64 v[17:18], v[19:20], 0.5
	;; [unrolled: 1-line block ×3, first 2 shown]
	s_waitcnt vmcnt(1)
	v_mul_f64 v[4:5], v[6:7], v[10:11]
	v_fma_f64 v[19:20], v[17:18], v[10:11], v[2:3]
	v_fma_f64 v[2:3], v[17:18], v[10:11], -v[2:3]
	v_fma_f64 v[10:11], v[0:1], 0.5, v[4:5]
	v_fma_f64 v[0:1], v[0:1], 0.5, -v[4:5]
	v_fma_f64 v[4:5], -v[8:9], v[6:7], v[19:20]
	v_fma_f64 v[2:3], -v[8:9], v[6:7], v[2:3]
	v_fma_f64 v[6:7], v[17:18], v[8:9], v[10:11]
	v_fma_f64 v[0:1], -v[17:18], v[8:9], v[0:1]
	v_add_nc_u32_e32 v8, 0x2800, v89
	ds_write2_b64 v8, v[6:7], v[4:5] offset0:106 offset1:107
	ds_write_b128 v12, v[0:3] offset:17424
	ds_read_b128 v[0:3], v89 offset:12672
	ds_read_b128 v[4:7], v12 offset:15840
	s_waitcnt lgkmcnt(0)
	v_add_f64 v[8:9], v[0:1], -v[4:5]
	v_add_f64 v[10:11], v[2:3], v[6:7]
	v_add_f64 v[2:3], v[2:3], -v[6:7]
	v_add_f64 v[0:1], v[0:1], v[4:5]
	v_mul_f64 v[6:7], v[8:9], 0.5
	v_mul_f64 v[8:9], v[10:11], 0.5
	;; [unrolled: 1-line block ×3, first 2 shown]
	s_waitcnt vmcnt(0)
	v_mul_f64 v[4:5], v[6:7], v[15:16]
	v_fma_f64 v[10:11], v[8:9], v[15:16], v[2:3]
	v_fma_f64 v[2:3], v[8:9], v[15:16], -v[2:3]
	v_fma_f64 v[15:16], v[0:1], 0.5, v[4:5]
	v_fma_f64 v[0:1], v[0:1], 0.5, -v[4:5]
	v_fma_f64 v[4:5], -v[13:14], v[6:7], v[10:11]
	v_fma_f64 v[2:3], -v[13:14], v[6:7], v[2:3]
	v_fma_f64 v[6:7], v[8:9], v[13:14], v[15:16]
	v_fma_f64 v[0:1], -v[8:9], v[13:14], v[0:1]
	v_add_nc_u32_e32 v8, 0x3000, v89
	ds_write2_b64 v8, v[6:7], v[4:5] offset0:48 offset1:49
	ds_write_b128 v12, v[0:3] offset:15840
	s_waitcnt lgkmcnt(0)
	s_barrier
	buffer_gl0_inv
	s_and_saveexec_b32 s0, vcc_lo
	s_cbranch_execz .LBB0_22
; %bb.20:
	ds_read_b128 v[2:5], v89
	ds_read_b128 v[6:9], v89 offset:1584
	ds_read_b128 v[10:13], v89 offset:3168
	;; [unrolled: 1-line block ×3, first 2 shown]
	v_add_co_u32 v0, vcc_lo, s2, v78
	v_add_co_ci_u32_e32 v1, vcc_lo, s3, v79, vcc_lo
	v_add_co_u32 v30, vcc_lo, v0, v24
	v_add_co_ci_u32_e32 v31, vcc_lo, v1, v25, vcc_lo
	;; [unrolled: 2-line block ×4, first 2 shown]
	v_add_co_u32 v32, vcc_lo, 0x1800, v30
	s_waitcnt lgkmcnt(3)
	global_store_dwordx4 v[30:31], v[2:5], off
	s_waitcnt lgkmcnt(2)
	global_store_dwordx4 v[30:31], v[6:9], off offset:1584
	s_waitcnt lgkmcnt(1)
	global_store_dwordx4 v[18:19], v[10:13], off offset:1120
	;; [unrolled: 2-line block ×3, first 2 shown]
	ds_read_b128 v[2:5], v89 offset:6336
	ds_read_b128 v[6:9], v89 offset:7920
	;; [unrolled: 1-line block ×7, first 2 shown]
	v_add_co_ci_u32_e32 v33, vcc_lo, 0, v31, vcc_lo
	v_add_co_u32 v34, vcc_lo, 0x2000, v30
	v_add_co_ci_u32_e32 v35, vcc_lo, 0, v31, vcc_lo
	v_add_co_u32 v36, vcc_lo, 0x2800, v30
	;; [unrolled: 2-line block ×3, first 2 shown]
	v_add_co_ci_u32_e32 v39, vcc_lo, 0, v31, vcc_lo
	s_waitcnt lgkmcnt(6)
	global_store_dwordx4 v[32:33], v[2:5], off offset:192
	s_waitcnt lgkmcnt(5)
	global_store_dwordx4 v[32:33], v[6:9], off offset:1776
	;; [unrolled: 2-line block ×6, first 2 shown]
	ds_read_b128 v[2:5], v89 offset:17424
	ds_read_b128 v[6:9], v89 offset:19008
	;; [unrolled: 1-line block ×3, first 2 shown]
	v_add_co_u32 v14, vcc_lo, 0x3800, v30
	v_add_co_ci_u32_e32 v15, vcc_lo, 0, v31, vcc_lo
	v_add_co_u32 v32, vcc_lo, 0x4000, v30
	v_add_co_ci_u32_e32 v33, vcc_lo, 0, v31, vcc_lo
	v_add_co_u32 v34, vcc_lo, 0x4800, v30
	s_waitcnt lgkmcnt(3)
	global_store_dwordx4 v[14:15], v[26:29], off offset:1504
	v_add_co_ci_u32_e32 v35, vcc_lo, 0, v31, vcc_lo
	ds_read_b128 v[14:17], v89 offset:22176
	ds_read_b128 v[18:21], v89 offset:23760
	;; [unrolled: 1-line block ×4, first 2 shown]
	v_add_co_u32 v36, vcc_lo, 0x5000, v30
	v_add_co_ci_u32_e32 v37, vcc_lo, 0, v31, vcc_lo
	s_waitcnt lgkmcnt(6)
	global_store_dwordx4 v[32:33], v[2:5], off offset:1040
	s_waitcnt lgkmcnt(5)
	global_store_dwordx4 v[34:35], v[6:9], off offset:576
	;; [unrolled: 2-line block ×3, first 2 shown]
	v_add_co_u32 v2, vcc_lo, 0x5800, v30
	v_add_co_ci_u32_e32 v3, vcc_lo, 0, v31, vcc_lo
	v_add_co_u32 v4, vcc_lo, 0x6000, v30
	v_add_co_ci_u32_e32 v5, vcc_lo, 0, v31, vcc_lo
	;; [unrolled: 2-line block ×3, first 2 shown]
	v_cmp_eq_u32_e32 vcc_lo, 0x62, v76
	s_waitcnt lgkmcnt(3)
	global_store_dwordx4 v[36:37], v[14:17], off offset:1696
	s_waitcnt lgkmcnt(2)
	global_store_dwordx4 v[2:3], v[18:21], off offset:1232
	;; [unrolled: 2-line block ×4, first 2 shown]
	s_and_b32 exec_lo, exec_lo, vcc_lo
	s_cbranch_execz .LBB0_22
; %bb.21:
	v_mov_b32_e32 v2, 0
	v_add_co_u32 v0, vcc_lo, 0x6800, v0
	v_add_co_ci_u32_e32 v1, vcc_lo, 0, v1, vcc_lo
	ds_read_b128 v[2:5], v2 offset:28512
	s_waitcnt lgkmcnt(0)
	global_store_dwordx4 v[0:1], v[2:5], off offset:1888
.LBB0_22:
	s_endpgm
	.section	.rodata,"a",@progbits
	.p2align	6, 0x0
	.amdhsa_kernel fft_rtc_back_len1782_factors_11_3_3_3_3_2_wgs_99_tpt_99_halfLds_dp_ip_CI_unitstride_sbrr_R2C_dirReg
		.amdhsa_group_segment_fixed_size 0
		.amdhsa_private_segment_fixed_size 0
		.amdhsa_kernarg_size 88
		.amdhsa_user_sgpr_count 6
		.amdhsa_user_sgpr_private_segment_buffer 1
		.amdhsa_user_sgpr_dispatch_ptr 0
		.amdhsa_user_sgpr_queue_ptr 0
		.amdhsa_user_sgpr_kernarg_segment_ptr 1
		.amdhsa_user_sgpr_dispatch_id 0
		.amdhsa_user_sgpr_flat_scratch_init 0
		.amdhsa_user_sgpr_private_segment_size 0
		.amdhsa_wavefront_size32 1
		.amdhsa_uses_dynamic_stack 0
		.amdhsa_system_sgpr_private_segment_wavefront_offset 0
		.amdhsa_system_sgpr_workgroup_id_x 1
		.amdhsa_system_sgpr_workgroup_id_y 0
		.amdhsa_system_sgpr_workgroup_id_z 0
		.amdhsa_system_sgpr_workgroup_info 0
		.amdhsa_system_vgpr_workitem_id 0
		.amdhsa_next_free_vgpr 171
		.amdhsa_next_free_sgpr 36
		.amdhsa_reserve_vcc 1
		.amdhsa_reserve_flat_scratch 0
		.amdhsa_float_round_mode_32 0
		.amdhsa_float_round_mode_16_64 0
		.amdhsa_float_denorm_mode_32 3
		.amdhsa_float_denorm_mode_16_64 3
		.amdhsa_dx10_clamp 1
		.amdhsa_ieee_mode 1
		.amdhsa_fp16_overflow 0
		.amdhsa_workgroup_processor_mode 1
		.amdhsa_memory_ordered 1
		.amdhsa_forward_progress 0
		.amdhsa_shared_vgpr_count 0
		.amdhsa_exception_fp_ieee_invalid_op 0
		.amdhsa_exception_fp_denorm_src 0
		.amdhsa_exception_fp_ieee_div_zero 0
		.amdhsa_exception_fp_ieee_overflow 0
		.amdhsa_exception_fp_ieee_underflow 0
		.amdhsa_exception_fp_ieee_inexact 0
		.amdhsa_exception_int_div_zero 0
	.end_amdhsa_kernel
	.text
.Lfunc_end0:
	.size	fft_rtc_back_len1782_factors_11_3_3_3_3_2_wgs_99_tpt_99_halfLds_dp_ip_CI_unitstride_sbrr_R2C_dirReg, .Lfunc_end0-fft_rtc_back_len1782_factors_11_3_3_3_3_2_wgs_99_tpt_99_halfLds_dp_ip_CI_unitstride_sbrr_R2C_dirReg
                                        ; -- End function
	.section	.AMDGPU.csdata,"",@progbits
; Kernel info:
; codeLenInByte = 18444
; NumSgprs: 38
; NumVgprs: 171
; ScratchSize: 0
; MemoryBound: 0
; FloatMode: 240
; IeeeMode: 1
; LDSByteSize: 0 bytes/workgroup (compile time only)
; SGPRBlocks: 4
; VGPRBlocks: 21
; NumSGPRsForWavesPerEU: 38
; NumVGPRsForWavesPerEU: 171
; Occupancy: 5
; WaveLimiterHint : 1
; COMPUTE_PGM_RSRC2:SCRATCH_EN: 0
; COMPUTE_PGM_RSRC2:USER_SGPR: 6
; COMPUTE_PGM_RSRC2:TRAP_HANDLER: 0
; COMPUTE_PGM_RSRC2:TGID_X_EN: 1
; COMPUTE_PGM_RSRC2:TGID_Y_EN: 0
; COMPUTE_PGM_RSRC2:TGID_Z_EN: 0
; COMPUTE_PGM_RSRC2:TIDIG_COMP_CNT: 0
	.text
	.p2alignl 6, 3214868480
	.fill 48, 4, 3214868480
	.type	__hip_cuid_53bc24da75edcaef,@object ; @__hip_cuid_53bc24da75edcaef
	.section	.bss,"aw",@nobits
	.globl	__hip_cuid_53bc24da75edcaef
__hip_cuid_53bc24da75edcaef:
	.byte	0                               ; 0x0
	.size	__hip_cuid_53bc24da75edcaef, 1

	.ident	"AMD clang version 19.0.0git (https://github.com/RadeonOpenCompute/llvm-project roc-6.4.0 25133 c7fe45cf4b819c5991fe208aaa96edf142730f1d)"
	.section	".note.GNU-stack","",@progbits
	.addrsig
	.addrsig_sym __hip_cuid_53bc24da75edcaef
	.amdgpu_metadata
---
amdhsa.kernels:
  - .args:
      - .actual_access:  read_only
        .address_space:  global
        .offset:         0
        .size:           8
        .value_kind:     global_buffer
      - .offset:         8
        .size:           8
        .value_kind:     by_value
      - .actual_access:  read_only
        .address_space:  global
        .offset:         16
        .size:           8
        .value_kind:     global_buffer
      - .actual_access:  read_only
        .address_space:  global
        .offset:         24
        .size:           8
        .value_kind:     global_buffer
      - .offset:         32
        .size:           8
        .value_kind:     by_value
      - .actual_access:  read_only
        .address_space:  global
        .offset:         40
        .size:           8
        .value_kind:     global_buffer
      - .actual_access:  read_only
        .address_space:  global
        .offset:         48
        .size:           8
        .value_kind:     global_buffer
      - .offset:         56
        .size:           4
        .value_kind:     by_value
      - .actual_access:  read_only
        .address_space:  global
        .offset:         64
        .size:           8
        .value_kind:     global_buffer
      - .actual_access:  read_only
        .address_space:  global
        .offset:         72
        .size:           8
        .value_kind:     global_buffer
      - .address_space:  global
        .offset:         80
        .size:           8
        .value_kind:     global_buffer
    .group_segment_fixed_size: 0
    .kernarg_segment_align: 8
    .kernarg_segment_size: 88
    .language:       OpenCL C
    .language_version:
      - 2
      - 0
    .max_flat_workgroup_size: 99
    .name:           fft_rtc_back_len1782_factors_11_3_3_3_3_2_wgs_99_tpt_99_halfLds_dp_ip_CI_unitstride_sbrr_R2C_dirReg
    .private_segment_fixed_size: 0
    .sgpr_count:     38
    .sgpr_spill_count: 0
    .symbol:         fft_rtc_back_len1782_factors_11_3_3_3_3_2_wgs_99_tpt_99_halfLds_dp_ip_CI_unitstride_sbrr_R2C_dirReg.kd
    .uniform_work_group_size: 1
    .uses_dynamic_stack: false
    .vgpr_count:     171
    .vgpr_spill_count: 0
    .wavefront_size: 32
    .workgroup_processor_mode: 1
amdhsa.target:   amdgcn-amd-amdhsa--gfx1030
amdhsa.version:
  - 1
  - 2
...

	.end_amdgpu_metadata
